;; amdgpu-corpus repo=ROCm/rocFFT kind=compiled arch=gfx1030 opt=O3
	.text
	.amdgcn_target "amdgcn-amd-amdhsa--gfx1030"
	.amdhsa_code_object_version 6
	.protected	bluestein_single_fwd_len1352_dim1_dp_op_CI_CI ; -- Begin function bluestein_single_fwd_len1352_dim1_dp_op_CI_CI
	.globl	bluestein_single_fwd_len1352_dim1_dp_op_CI_CI
	.p2align	8
	.type	bluestein_single_fwd_len1352_dim1_dp_op_CI_CI,@function
bluestein_single_fwd_len1352_dim1_dp_op_CI_CI: ; @bluestein_single_fwd_len1352_dim1_dp_op_CI_CI
; %bb.0:
	s_load_dwordx4 s[8:11], s[4:5], 0x28
	v_mul_u32_u24_e32 v1, 0x4ed, v0
	s_mov_b64 s[54:55], s[2:3]
	s_mov_b64 s[52:53], s[0:1]
	v_mov_b32_e32 v7, 0
	s_add_u32 s52, s52, s7
	v_lshrrev_b32_e32 v1, 16, v1
	s_addc_u32 s53, s53, 0
	s_mov_b32 s0, exec_lo
	v_add_nc_u32_e32 v6, s6, v1
	s_waitcnt lgkmcnt(0)
	v_cmpx_gt_u64_e64 s[8:9], v[6:7]
	s_cbranch_execz .LBB0_12
; %bb.1:
	s_clause 0x1
	s_load_dwordx4 s[0:3], s[4:5], 0x18
	s_load_dwordx4 s[12:15], s[4:5], 0x0
	v_mul_lo_u16 v1, v1, 52
	v_mov_b32_e32 v7, v6
	s_mov_b32 s36, 0x4267c47c
	s_mov_b32 s24, 0x42a4c3d2
	;; [unrolled: 1-line block ×3, first 2 shown]
	v_sub_nc_u16 v0, v0, v1
	s_mov_b32 s20, 0x2ef20147
	s_mov_b32 s26, 0x24c2f84
	;; [unrolled: 1-line block ×4, first 2 shown]
	v_and_b32_e32 v253, 0xffff, v0
	v_mov_b32_e32 v114, v0
	s_mov_b32 s25, 0xbfea55e2
	s_mov_b32 s31, 0xbfefc445
	;; [unrolled: 1-line block ×3, first 2 shown]
	v_or_b32_e32 v9, 0x340, v253
	buffer_store_dword v114, off, s[52:55], 0 ; 4-byte Folded Spill
	v_lshlrev_b32_e32 v252, 4, v253
	s_waitcnt lgkmcnt(0)
	s_load_dwordx4 s[16:19], s[0:1], 0x0
	buffer_store_dword v7, off, s[52:55], 0 offset:16 ; 4-byte Folded Spill
	buffer_store_dword v8, off, s[52:55], 0 offset:20 ; 4-byte Folded Spill
	v_lshlrev_b32_e32 v10, 4, v9
	buffer_store_dword v9, off, s[52:55], 0 offset:24 ; 4-byte Folded Spill
	v_add_co_u32 v58, s0, s12, v252
	v_add_co_ci_u32_e64 v59, null, s13, 0, s0
	global_load_dwordx4 v[66:69], v252, s[12:13]
	buffer_store_dword v10, off, s[52:55], 0 offset:1120 ; 4-byte Folded Spill
	v_add_co_u32 v255, null, v253, 52
	v_lshlrev_b32_e32 v254, 5, v253
	s_mov_b32 s27, 0xbfe5384d
	s_mov_b32 s35, 0xbfcea1e5
	;; [unrolled: 1-line block ×7, first 2 shown]
	s_waitcnt lgkmcnt(0)
	v_mad_u64_u32 v[0:1], null, s18, v6, 0
	v_mad_u64_u32 v[2:3], null, s16, v253, 0
	;; [unrolled: 1-line block ×3, first 2 shown]
	s_mul_i32 s1, s17, 0x2a40
	s_mul_hi_u32 s7, s16, 0x2a40
	s_mul_i32 s0, s16, 0x2a40
	s_add_i32 s1, s7, s1
	v_mad_u64_u32 v[6:7], null, s19, v6, v[1:2]
	v_mov_b32_e32 v1, v5
	v_mad_u64_u32 v[7:8], null, s17, v253, v[3:4]
	s_mul_hi_u32 s8, s16, 0xffffd900
	s_mul_i32 s9, s17, 0xffffd900
	v_mad_u64_u32 v[8:9], null, s17, v9, v[1:2]
	v_mov_b32_e32 v1, v6
	v_add_co_u32 v6, vcc_lo, 0x2800, v58
	v_mov_b32_e32 v3, v7
	v_add_co_ci_u32_e32 v7, vcc_lo, 0, v59, vcc_lo
	v_lshlrev_b64 v[0:1], 4, v[0:1]
	v_mov_b32_e32 v5, v8
	v_lshlrev_b64 v[2:3], 4, v[2:3]
	s_mul_i32 s6, s16, 0xffffd900
	s_sub_i32 s7, s8, s16
	s_mov_b32 s18, 0xb2365da1
	v_add_co_u32 v8, vcc_lo, s10, v0
	v_add_co_ci_u32_e32 v9, vcc_lo, s11, v1, vcc_lo
	v_lshlrev_b64 v[0:1], 4, v[4:5]
	v_add_co_u32 v2, vcc_lo, v8, v2
	v_add_co_ci_u32_e32 v3, vcc_lo, v9, v3, vcc_lo
	s_add_i32 s7, s7, s9
	v_add_co_u32 v0, vcc_lo, v8, v0
	global_load_dwordx4 v[16:19], v[2:3], off
	v_add_co_ci_u32_e32 v1, vcc_lo, v9, v1, vcc_lo
	s_clause 0x1
	global_load_dwordx4 v[70:73], v10, s[12:13]
	global_load_dwordx4 v[98:101], v[6:7], off offset:576
	s_mov_b32 s19, 0xbfd6b1d8
	s_mov_b32 s44, s26
	global_load_dwordx4 v[20:23], v[0:1], off
	v_add_co_u32 v0, vcc_lo, v2, s0
	v_add_co_ci_u32_e32 v1, vcc_lo, s1, v3, vcc_lo
	s_mov_b32 s39, 0x3fefc445
	v_add_co_u32 v2, vcc_lo, v0, s6
	v_add_co_ci_u32_e32 v3, vcc_lo, s7, v1, vcc_lo
	global_load_dwordx4 v[40:43], v[0:1], off
	global_load_dwordx4 v[102:105], v252, s[12:13] offset:832
	global_load_dwordx4 v[28:31], v[2:3], off
	v_add_co_u32 v0, vcc_lo, v2, s0
	v_add_co_ci_u32_e32 v1, vcc_lo, s1, v3, vcc_lo
	s_mov_b32 s38, s30
	v_add_co_u32 v2, vcc_lo, v0, s6
	v_add_co_ci_u32_e32 v3, vcc_lo, s7, v1, vcc_lo
	global_load_dwordx4 v[94:97], v[6:7], off offset:1408
	global_load_dwordx4 v[32:35], v[0:1], off
	global_load_dwordx4 v[90:93], v252, s[12:13] offset:1664
	global_load_dwordx4 v[12:15], v[2:3], off
	v_add_co_u32 v0, vcc_lo, v2, s0
	v_add_co_ci_u32_e32 v1, vcc_lo, s1, v3, vcc_lo
	v_add_co_u32 v2, vcc_lo, 0x3000, v58
	v_add_co_ci_u32_e32 v3, vcc_lo, 0, v59, vcc_lo
	;; [unrolled: 2-line block ×4, first 2 shown]
	v_mad_u64_u32 v[8:9], null, 0x340, s16, v[4:5]
	global_load_dwordx4 v[106:109], v[2:3], off offset:192
	global_load_dwordx4 v[44:47], v[0:1], off
	global_load_dwordx4 v[24:27], v[4:5], off
	s_clause 0x1
	global_load_dwordx4 v[110:113], v[6:7], off offset:448
	global_load_dwordx4 v[86:89], v[6:7], off offset:1280
	s_mov_b32 s41, 0x3fddbe06
	s_mov_b32 s40, s36
	;; [unrolled: 1-line block ×3, first 2 shown]
	v_mov_b32_e32 v0, v9
	s_mov_b32 s48, s20
	s_mov_b32 s47, 0x3fcea1e5
	;; [unrolled: 1-line block ×4, first 2 shown]
	v_mad_u64_u32 v[0:1], null, 0x340, s17, v[0:1]
	s_mov_b32 s16, 0xebaa3ed8
	s_mov_b32 s17, 0x3fbedb7d
	;; [unrolled: 1-line block ×3, first 2 shown]
	v_mov_b32_e32 v9, v0
	v_add_co_u32 v0, vcc_lo, v8, s0
	v_add_co_ci_u32_e32 v1, vcc_lo, s1, v9, vcc_lo
	v_add_co_u32 v48, vcc_lo, 0x1000, v58
	v_add_co_ci_u32_e32 v49, vcc_lo, 0, v59, vcc_lo
	;; [unrolled: 2-line block ×5, first 2 shown]
	global_load_dwordx4 v[36:39], v[8:9], off
	global_load_dwordx4 v[74:77], v[2:3], off offset:1856
	global_load_dwordx4 v[8:11], v[0:1], off
	global_load_dwordx4 v[78:81], v[48:49], off offset:64
	;; [unrolled: 2-line block ×3, first 2 shown]
	global_load_dwordx4 v[4:7], v[50:51], off
	s_waitcnt vmcnt(22)
	v_mul_f64 v[54:55], v[18:19], v[68:69]
	v_mul_f64 v[56:57], v[16:17], v[68:69]
	s_waitcnt vmcnt(19)
	v_mul_f64 v[60:61], v[22:23], v[72:73]
	v_mul_f64 v[62:63], v[20:21], v[72:73]
	s_waitcnt vmcnt(18)
	v_mul_f64 v[64:65], v[42:43], v[100:101]
	v_fma_f64 v[16:17], v[16:17], v[66:67], v[54:55]
	buffer_store_dword v66, off, s[52:55], 0 offset:36 ; 4-byte Folded Spill
	buffer_store_dword v67, off, s[52:55], 0 offset:40 ; 4-byte Folded Spill
	;; [unrolled: 1-line block ×4, first 2 shown]
	v_mul_f64 v[54:55], v[40:41], v[100:101]
	v_fma_f64 v[20:21], v[20:21], v[70:71], v[60:61]
	buffer_store_dword v70, off, s[52:55], 0 offset:52 ; 4-byte Folded Spill
	buffer_store_dword v71, off, s[52:55], 0 offset:56 ; 4-byte Folded Spill
	;; [unrolled: 1-line block ×4, first 2 shown]
	s_waitcnt vmcnt(16)
	v_mul_f64 v[60:61], v[28:29], v[104:105]
	v_fma_f64 v[40:41], v[40:41], v[98:99], v[64:65]
	buffer_store_dword v98, off, s[52:55], 0 offset:164 ; 4-byte Folded Spill
	buffer_store_dword v99, off, s[52:55], 0 offset:168 ; 4-byte Folded Spill
	;; [unrolled: 1-line block ×4, first 2 shown]
	s_waitcnt vmcnt(12)
	v_mul_f64 v[64:65], v[14:15], v[92:93]
	v_fma_f64 v[18:19], v[18:19], v[66:67], -v[56:57]
	v_mul_f64 v[56:57], v[30:31], v[104:105]
	v_fma_f64 v[22:23], v[22:23], v[70:71], -v[62:63]
	;; [unrolled: 2-line block ×3, first 2 shown]
	v_mul_f64 v[54:55], v[32:33], v[96:97]
	v_fma_f64 v[28:29], v[28:29], v[102:103], v[56:57]
	buffer_store_dword v102, off, s[52:55], 0 offset:180 ; 4-byte Folded Spill
	buffer_store_dword v103, off, s[52:55], 0 offset:184 ; 4-byte Folded Spill
	;; [unrolled: 1-line block ×4, first 2 shown]
	v_mul_f64 v[56:57], v[12:13], v[92:93]
	v_fma_f64 v[12:13], v[12:13], v[90:91], v[64:65]
	v_fma_f64 v[32:33], v[32:33], v[94:95], v[62:63]
	buffer_store_dword v94, off, s[52:55], 0 offset:148 ; 4-byte Folded Spill
	buffer_store_dword v95, off, s[52:55], 0 offset:152 ; 4-byte Folded Spill
	;; [unrolled: 1-line block ×8, first 2 shown]
	s_waitcnt vmcnt(8)
	v_mul_f64 v[62:63], v[26:27], v[112:113]
	v_fma_f64 v[30:31], v[30:31], v[102:103], -v[60:61]
	v_mul_f64 v[60:61], v[46:47], v[108:109]
	v_fma_f64 v[34:35], v[34:35], v[94:95], -v[54:55]
	;; [unrolled: 2-line block ×3, first 2 shown]
	v_mul_f64 v[56:57], v[24:25], v[112:113]
	v_fma_f64 v[24:25], v[24:25], v[110:111], v[62:63]
	s_waitcnt vmcnt(4)
	v_mul_f64 v[62:63], v[8:9], v[76:77]
	v_fma_f64 v[44:45], v[44:45], v[106:107], v[60:61]
	buffer_store_dword v106, off, s[52:55], 0 offset:196 ; 4-byte Folded Spill
	buffer_store_dword v107, off, s[52:55], 0 offset:200 ; 4-byte Folded Spill
	;; [unrolled: 1-line block ×8, first 2 shown]
	v_mul_f64 v[60:61], v[36:37], v[88:89]
	v_fma_f64 v[46:47], v[46:47], v[106:107], -v[54:55]
	v_mul_f64 v[54:55], v[38:39], v[88:89]
	v_fma_f64 v[26:27], v[26:27], v[110:111], -v[56:57]
	v_mul_f64 v[56:57], v[10:11], v[76:77]
	v_fma_f64 v[36:37], v[36:37], v[86:87], v[54:55]
	s_waitcnt vmcnt(2)
	v_mul_f64 v[54:55], v[2:3], v[80:81]
	buffer_store_dword v86, off, s[52:55], 0 offset:116 ; 4-byte Folded Spill
	buffer_store_dword v87, off, s[52:55], 0 offset:120 ; 4-byte Folded Spill
	;; [unrolled: 1-line block ×4, first 2 shown]
	global_load_dwordx4 v[64:67], v[48:49], off offset:896
	v_fma_f64 v[8:9], v[8:9], v[74:75], v[56:57]
	buffer_store_dword v74, off, s[52:55], 0 offset:68 ; 4-byte Folded Spill
	buffer_store_dword v75, off, s[52:55], 0 offset:72 ; 4-byte Folded Spill
	;; [unrolled: 1-line block ×4, first 2 shown]
	v_mul_f64 v[56:57], v[0:1], v[80:81]
	global_load_dwordx4 v[68:71], v[52:53], off offset:1472
	s_waitcnt vmcnt(2)
	v_mul_f64 v[52:53], v[6:7], v[84:85]
	v_fma_f64 v[0:1], v[0:1], v[78:79], v[54:55]
	buffer_store_dword v78, off, s[52:55], 0 offset:84 ; 4-byte Folded Spill
	buffer_store_dword v79, off, s[52:55], 0 offset:88 ; 4-byte Folded Spill
	;; [unrolled: 1-line block ×4, first 2 shown]
	v_mul_f64 v[54:55], v[4:5], v[84:85]
	v_fma_f64 v[4:5], v[4:5], v[82:83], v[52:53]
	buffer_store_dword v82, off, s[52:55], 0 offset:100 ; 4-byte Folded Spill
	buffer_store_dword v83, off, s[52:55], 0 offset:104 ; 4-byte Folded Spill
	;; [unrolled: 1-line block ×4, first 2 shown]
	v_fma_f64 v[38:39], v[38:39], v[86:87], -v[60:61]
	v_fma_f64 v[10:11], v[10:11], v[74:75], -v[62:63]
	;; [unrolled: 1-line block ×3, first 2 shown]
	v_add_co_u32 v56, vcc_lo, v50, s6
	v_add_co_ci_u32_e32 v57, vcc_lo, s7, v51, vcc_lo
	v_fma_f64 v[6:7], v[6:7], v[82:83], -v[54:55]
	global_load_dwordx4 v[50:53], v[56:57], off
	s_waitcnt vmcnt(0)
	v_mul_f64 v[54:55], v[52:53], v[66:67]
	v_mul_f64 v[60:61], v[50:51], v[66:67]
	v_fma_f64 v[50:51], v[50:51], v[64:65], v[54:55]
	buffer_store_dword v64, off, s[52:55], 0 offset:228 ; 4-byte Folded Spill
	buffer_store_dword v65, off, s[52:55], 0 offset:232 ; 4-byte Folded Spill
	;; [unrolled: 1-line block ×4, first 2 shown]
	v_fma_f64 v[52:53], v[52:53], v[64:65], -v[60:61]
	v_add_co_u32 v60, vcc_lo, v56, s0
	v_add_co_ci_u32_e32 v61, vcc_lo, s1, v57, vcc_lo
	global_load_dwordx4 v[54:57], v[60:61], off
	s_waitcnt vmcnt(0)
	v_mul_f64 v[62:63], v[56:57], v[70:71]
	v_mul_f64 v[64:65], v[54:55], v[70:71]
	v_fma_f64 v[54:55], v[54:55], v[68:69], v[62:63]
	buffer_store_dword v68, off, s[52:55], 0 offset:244 ; 4-byte Folded Spill
	buffer_store_dword v69, off, s[52:55], 0 offset:248 ; 4-byte Folded Spill
	;; [unrolled: 1-line block ×4, first 2 shown]
	v_fma_f64 v[56:57], v[56:57], v[68:69], -v[64:65]
	v_add_co_u32 v64, vcc_lo, v60, s6
	v_add_co_ci_u32_e32 v65, vcc_lo, s7, v61, vcc_lo
	global_load_dwordx4 v[68:71], v[48:49], off offset:1728
	global_load_dwordx4 v[60:63], v[64:65], off
	s_waitcnt vmcnt(0)
	v_mul_f64 v[48:49], v[62:63], v[70:71]
	v_mul_f64 v[66:67], v[60:61], v[70:71]
	v_fma_f64 v[60:61], v[60:61], v[68:69], v[48:49]
	buffer_store_dword v68, off, s[52:55], 0 offset:308 ; 4-byte Folded Spill
	buffer_store_dword v69, off, s[52:55], 0 offset:312 ; 4-byte Folded Spill
	;; [unrolled: 1-line block ×4, first 2 shown]
	v_add_co_u32 v48, vcc_lo, v64, s0
	v_add_co_ci_u32_e32 v49, vcc_lo, s1, v65, vcc_lo
	v_add_co_u32 v80, vcc_lo, 0x4000, v58
	v_add_co_ci_u32_e32 v81, vcc_lo, 0, v59, vcc_lo
	v_fma_f64 v[62:63], v[62:63], v[68:69], -v[66:67]
	global_load_dwordx4 v[64:67], v[48:49], off
	s_clause 0x1
	global_load_dwordx4 v[72:75], v[80:81], off offset:256
	global_load_dwordx4 v[82:85], v[80:81], off offset:1088
	v_add_co_u32 v48, vcc_lo, v48, s6
	v_add_co_ci_u32_e32 v49, vcc_lo, s7, v49, vcc_lo
	s_waitcnt vmcnt(1)
	v_mul_f64 v[68:69], v[66:67], v[74:75]
	v_mul_f64 v[70:71], v[64:65], v[74:75]
	v_fma_f64 v[64:65], v[64:65], v[72:73], v[68:69]
	buffer_store_dword v72, off, s[52:55], 0 offset:340 ; 4-byte Folded Spill
	buffer_store_dword v73, off, s[52:55], 0 offset:344 ; 4-byte Folded Spill
	;; [unrolled: 1-line block ×4, first 2 shown]
	v_add_co_u32 v68, vcc_lo, 0x1800, v58
	v_add_co_ci_u32_e32 v69, vcc_lo, 0, v59, vcc_lo
	v_fma_f64 v[66:67], v[66:67], v[72:73], -v[70:71]
	s_clause 0x1
	global_load_dwordx4 v[76:79], v[68:69], off offset:512
	global_load_dwordx4 v[86:89], v[68:69], off offset:1344
	global_load_dwordx4 v[68:71], v[48:49], off
	v_add_co_u32 v48, vcc_lo, v48, s0
	v_add_co_ci_u32_e32 v49, vcc_lo, s1, v49, vcc_lo
	s_waitcnt vmcnt(0)
	v_mul_f64 v[72:73], v[70:71], v[78:79]
	v_mul_f64 v[74:75], v[68:69], v[78:79]
	v_fma_f64 v[68:69], v[68:69], v[76:77], v[72:73]
	buffer_store_dword v76, off, s[52:55], 0 offset:404 ; 4-byte Folded Spill
	buffer_store_dword v77, off, s[52:55], 0 offset:408 ; 4-byte Folded Spill
	buffer_store_dword v78, off, s[52:55], 0 offset:412 ; 4-byte Folded Spill
	buffer_store_dword v79, off, s[52:55], 0 offset:416 ; 4-byte Folded Spill
	v_fma_f64 v[70:71], v[70:71], v[76:77], -v[74:75]
	global_load_dwordx4 v[72:75], v[48:49], off
	v_add_co_u32 v48, vcc_lo, v48, s6
	v_add_co_ci_u32_e32 v49, vcc_lo, s7, v49, vcc_lo
	s_waitcnt vmcnt(0)
	v_mul_f64 v[76:77], v[74:75], v[84:85]
	v_mul_f64 v[78:79], v[72:73], v[84:85]
	v_fma_f64 v[72:73], v[72:73], v[82:83], v[76:77]
	buffer_store_dword v82, off, s[52:55], 0 offset:388 ; 4-byte Folded Spill
	buffer_store_dword v83, off, s[52:55], 0 offset:392 ; 4-byte Folded Spill
	;; [unrolled: 1-line block ×4, first 2 shown]
	v_fma_f64 v[74:75], v[74:75], v[82:83], -v[78:79]
	global_load_dwordx4 v[76:79], v[48:49], off
	v_add_co_u32 v48, vcc_lo, v48, s0
	v_add_co_ci_u32_e32 v49, vcc_lo, s1, v49, vcc_lo
	s_waitcnt vmcnt(0)
	v_mul_f64 v[82:83], v[78:79], v[88:89]
	v_mul_f64 v[84:85], v[76:77], v[88:89]
	v_fma_f64 v[76:77], v[76:77], v[86:87], v[82:83]
	buffer_store_dword v86, off, s[52:55], 0 offset:260 ; 4-byte Folded Spill
	buffer_store_dword v87, off, s[52:55], 0 offset:264 ; 4-byte Folded Spill
	;; [unrolled: 1-line block ×4, first 2 shown]
	global_load_dwordx4 v[88:91], v[80:81], off offset:1920
	global_load_dwordx4 v[80:83], v[48:49], off
	v_add_co_u32 v48, vcc_lo, v48, s6
	v_add_co_ci_u32_e32 v49, vcc_lo, s7, v49, vcc_lo
	v_add_co_u32 v100, vcc_lo, 0x2000, v58
	v_add_co_ci_u32_e32 v101, vcc_lo, 0, v59, vcc_lo
	v_fma_f64 v[78:79], v[78:79], v[86:87], -v[84:85]
	s_waitcnt vmcnt(0)
	v_mul_f64 v[84:85], v[82:83], v[90:91]
	v_mul_f64 v[86:87], v[80:81], v[90:91]
	v_fma_f64 v[80:81], v[80:81], v[88:89], v[84:85]
	buffer_store_dword v88, off, s[52:55], 0 offset:324 ; 4-byte Folded Spill
	buffer_store_dword v89, off, s[52:55], 0 offset:328 ; 4-byte Folded Spill
	;; [unrolled: 1-line block ×4, first 2 shown]
	v_fma_f64 v[82:83], v[82:83], v[88:89], -v[86:87]
	global_load_dwordx4 v[84:87], v[48:49], off
	s_clause 0x1
	global_load_dwordx4 v[92:95], v[100:101], off offset:128
	global_load_dwordx4 v[102:105], v[100:101], off offset:960
	v_add_co_u32 v48, vcc_lo, v48, s0
	v_add_co_ci_u32_e32 v49, vcc_lo, s1, v49, vcc_lo
	s_waitcnt vmcnt(1)
	v_mul_f64 v[88:89], v[86:87], v[94:95]
	v_mul_f64 v[90:91], v[84:85], v[94:95]
	v_fma_f64 v[84:85], v[84:85], v[92:93], v[88:89]
	buffer_store_dword v92, off, s[52:55], 0 offset:276 ; 4-byte Folded Spill
	buffer_store_dword v93, off, s[52:55], 0 offset:280 ; 4-byte Folded Spill
	;; [unrolled: 1-line block ×4, first 2 shown]
	v_add_co_u32 v88, vcc_lo, 0x4800, v58
	v_add_co_ci_u32_e32 v89, vcc_lo, 0, v59, vcc_lo
	v_fma_f64 v[86:87], v[86:87], v[92:93], -v[90:91]
	s_clause 0x1
	global_load_dwordx4 v[96:99], v[88:89], off offset:704
	global_load_dwordx4 v[106:109], v[88:89], off offset:1536
	global_load_dwordx4 v[88:91], v[48:49], off
	v_add_co_u32 v48, vcc_lo, v48, s6
	v_add_co_ci_u32_e32 v49, vcc_lo, s7, v49, vcc_lo
	s_waitcnt vmcnt(0)
	v_mul_f64 v[92:93], v[90:91], v[98:99]
	v_mul_f64 v[94:95], v[88:89], v[98:99]
	v_fma_f64 v[88:89], v[88:89], v[96:97], v[92:93]
	buffer_store_dword v96, off, s[52:55], 0 offset:356 ; 4-byte Folded Spill
	buffer_store_dword v97, off, s[52:55], 0 offset:360 ; 4-byte Folded Spill
	;; [unrolled: 1-line block ×4, first 2 shown]
	v_fma_f64 v[90:91], v[90:91], v[96:97], -v[94:95]
	global_load_dwordx4 v[92:95], v[48:49], off
	v_add_co_u32 v48, vcc_lo, v48, s0
	v_add_co_ci_u32_e32 v49, vcc_lo, s1, v49, vcc_lo
	s_waitcnt vmcnt(0)
	v_mul_f64 v[96:97], v[94:95], v[104:105]
	v_mul_f64 v[98:99], v[92:93], v[104:105]
	v_fma_f64 v[92:93], v[92:93], v[102:103], v[96:97]
	buffer_store_dword v102, off, s[52:55], 0 offset:292 ; 4-byte Folded Spill
	buffer_store_dword v103, off, s[52:55], 0 offset:296 ; 4-byte Folded Spill
	;; [unrolled: 1-line block ×4, first 2 shown]
	v_fma_f64 v[94:95], v[94:95], v[102:103], -v[98:99]
	global_load_dwordx4 v[96:99], v[48:49], off
	v_add_co_u32 v48, vcc_lo, v48, s6
	v_add_co_ci_u32_e32 v49, vcc_lo, s7, v49, vcc_lo
	s_mov_b32 s6, 0x1ea71119
	s_mov_b32 s7, 0x3fe22d96
	s_waitcnt vmcnt(0)
	v_mul_f64 v[102:103], v[98:99], v[108:109]
	v_mul_f64 v[104:105], v[96:97], v[108:109]
	v_fma_f64 v[96:97], v[96:97], v[106:107], v[102:103]
	buffer_store_dword v106, off, s[52:55], 0 offset:372 ; 4-byte Folded Spill
	buffer_store_dword v107, off, s[52:55], 0 offset:376 ; 4-byte Folded Spill
	;; [unrolled: 1-line block ×4, first 2 shown]
	global_load_dwordx4 v[108:111], v[100:101], off offset:1792
	global_load_dwordx4 v[100:103], v[48:49], off
	v_add_co_u32 v48, vcc_lo, v48, s0
	v_add_co_ci_u32_e32 v49, vcc_lo, s1, v49, vcc_lo
	v_add_co_u32 v58, vcc_lo, 0x5000, v58
	v_add_co_ci_u32_e32 v59, vcc_lo, 0, v59, vcc_lo
	v_fma_f64 v[98:99], v[98:99], v[106:107], -v[104:105]
	s_waitcnt vmcnt(0)
	v_mul_f64 v[104:105], v[102:103], v[110:111]
	v_mul_f64 v[106:107], v[100:101], v[110:111]
	v_fma_f64 v[100:101], v[100:101], v[108:109], v[104:105]
	buffer_store_dword v108, off, s[52:55], 0 offset:420 ; 4-byte Folded Spill
	buffer_store_dword v109, off, s[52:55], 0 offset:424 ; 4-byte Folded Spill
	;; [unrolled: 1-line block ×4, first 2 shown]
	v_fma_f64 v[102:103], v[102:103], v[108:109], -v[106:107]
	global_load_dwordx4 v[108:111], v[58:59], off offset:320
	global_load_dwordx4 v[104:107], v[48:49], off
	s_waitcnt vmcnt(0)
	v_mul_f64 v[48:49], v[106:107], v[110:111]
	v_mul_f64 v[58:59], v[104:105], v[110:111]
	v_fma_f64 v[104:105], v[104:105], v[108:109], v[48:49]
	buffer_store_dword v108, off, s[52:55], 0 offset:436 ; 4-byte Folded Spill
	buffer_store_dword v109, off, s[52:55], 0 offset:440 ; 4-byte Folded Spill
	;; [unrolled: 1-line block ×4, first 2 shown]
	ds_write_b128 v252, v[16:19]
	ds_write_b128 v252, v[20:23] offset:13312
	ds_write_b128 v252, v[40:43] offset:10816
	;; [unrolled: 1-line block ×22, first 2 shown]
	s_load_dwordx4 s[8:11], s[2:3], 0x0
	s_mov_b32 s2, 0xe00740e9
	s_mov_b32 s3, 0x3fec55a7
	v_fma_f64 v[106:107], v[106:107], v[108:109], -v[58:59]
	ds_write_b128 v252, v[96:99] offset:19968
	ds_write_b128 v252, v[100:103] offset:9984
	;; [unrolled: 1-line block ×3, first 2 shown]
	s_waitcnt lgkmcnt(0)
	s_waitcnt_vscnt null, 0x0
	s_barrier
	buffer_gl0_inv
	ds_read_b128 v[0:3], v252 offset:10816
	ds_read_b128 v[4:7], v252
	ds_read_b128 v[8:11], v252 offset:832
	ds_read_b128 v[12:15], v252 offset:9984
	;; [unrolled: 1-line block ×24, first 2 shown]
	v_mov_b32_e32 v104, 4
	v_lshlrev_b16 v105, 1, v114
	s_waitcnt lgkmcnt(0)
	s_barrier
	buffer_gl0_inv
	v_add_f64 v[0:1], v[4:5], -v[0:1]
	v_add_f64 v[2:3], v[6:7], -v[2:3]
	;; [unrolled: 1-line block ×26, first 2 shown]
	v_lshlrev_b32_sdwa v104, v104, v105 dst_sel:DWORD dst_unused:UNUSED_PAD src0_sel:DWORD src1_sel:WORD_0
	v_fma_f64 v[4:5], v[4:5], 2.0, -v[0:1]
	v_fma_f64 v[6:7], v[6:7], 2.0, -v[2:3]
	;; [unrolled: 1-line block ×4, first 2 shown]
	ds_write_b128 v104, v[0:3] offset:16
	v_lshlrev_b32_e32 v1, 5, v255
	v_add_nc_u32_e32 v0, 0x138, v253
	v_fma_f64 v[24:25], v[24:25], 2.0, -v[20:21]
	v_fma_f64 v[12:13], v[12:13], 2.0, -v[100:101]
	;; [unrolled: 1-line block ×6, first 2 shown]
	ds_write_b128 v1, v[16:19] offset:16
	ds_write_b128 v254, v[20:23] offset:3344
	;; [unrolled: 1-line block ×5, first 2 shown]
	buffer_store_dword v0, off, s[52:55], 0 offset:468 ; 4-byte Folded Spill
	v_lshlrev_b32_e32 v0, 5, v0
	v_fma_f64 v[40:41], v[40:41], 2.0, -v[36:37]
	v_fma_f64 v[42:43], v[42:43], 2.0, -v[38:39]
	;; [unrolled: 1-line block ×10, first 2 shown]
	buffer_store_dword v0, off, s[52:55], 0 offset:1092 ; 4-byte Folded Spill
	ds_write_b128 v0, v[52:55] offset:16
	ds_write_b128 v254, v[64:67] offset:11664
	;; [unrolled: 1-line block ×7, first 2 shown]
	v_and_b32_e32 v0, 1, v253
	v_fma_f64 v[76:77], v[76:77], 2.0, -v[80:81]
	v_fma_f64 v[78:79], v[78:79], 2.0, -v[82:83]
	;; [unrolled: 1-line block ×6, first 2 shown]
	v_mul_u32_u24_e32 v0, 12, v0
	buffer_store_dword v104, off, s[52:55], 0 offset:1116 ; 4-byte Folded Spill
	ds_write_b128 v104, v[4:7]
	buffer_store_dword v1, off, s[52:55], 0 offset:1112 ; 4-byte Folded Spill
	ds_write_b128 v1, v[8:11]
	ds_write_b128 v254, v[24:27] offset:3328
	ds_write_b128 v254, v[28:31] offset:4992
	;; [unrolled: 1-line block ×10, first 2 shown]
	v_lshlrev_b32_e32 v34, 4, v0
	ds_write_b128 v254, v[12:15] offset:19968
	s_waitcnt lgkmcnt(0)
	s_waitcnt_vscnt null, 0x0
	s_barrier
	buffer_gl0_inv
	s_clause 0x1
	global_load_dwordx4 v[46:49], v34, s[14:15]
	global_load_dwordx4 v[62:65], v34, s[14:15] offset:16
	ds_read_b128 v[0:3], v252 offset:1664
	ds_read_b128 v[10:13], v252 offset:2496
	s_waitcnt vmcnt(1) lgkmcnt(1)
	v_mul_f64 v[4:5], v[2:3], v[48:49]
	v_fma_f64 v[4:5], v[0:1], v[46:47], -v[4:5]
	v_mul_f64 v[0:1], v[0:1], v[48:49]
	v_fma_f64 v[6:7], v[2:3], v[46:47], v[0:1]
	ds_read_b128 v[0:3], v252 offset:3328
	ds_read_b128 v[14:17], v252 offset:4160
	s_clause 0x1
	global_load_dwordx4 v[78:81], v34, s[14:15] offset:32
	global_load_dwordx4 v[74:77], v34, s[14:15] offset:48
	s_waitcnt vmcnt(2) lgkmcnt(1)
	v_mul_f64 v[8:9], v[2:3], v[64:65]
	v_fma_f64 v[100:101], v[0:1], v[62:63], -v[8:9]
	v_mul_f64 v[0:1], v[0:1], v[64:65]
	v_fma_f64 v[102:103], v[2:3], v[62:63], v[0:1]
	ds_read_b128 v[0:3], v252 offset:4992
	ds_read_b128 v[18:21], v252 offset:5824
	s_waitcnt vmcnt(1) lgkmcnt(1)
	v_mul_f64 v[8:9], v[2:3], v[80:81]
	v_fma_f64 v[104:105], v[0:1], v[78:79], -v[8:9]
	v_mul_f64 v[0:1], v[0:1], v[80:81]
	v_fma_f64 v[106:107], v[2:3], v[78:79], v[0:1]
	ds_read_b128 v[0:3], v252 offset:6656
	ds_read_b128 v[22:25], v252 offset:7488
	s_clause 0x1
	global_load_dwordx4 v[70:73], v34, s[14:15] offset:64
	global_load_dwordx4 v[66:69], v34, s[14:15] offset:80
	s_waitcnt vmcnt(2) lgkmcnt(1)
	v_mul_f64 v[8:9], v[2:3], v[76:77]
	v_fma_f64 v[108:109], v[0:1], v[74:75], -v[8:9]
	v_mul_f64 v[0:1], v[0:1], v[76:77]
	v_fma_f64 v[110:111], v[2:3], v[74:75], v[0:1]
	;; [unrolled: 17-line block ×3, first 2 shown]
	ds_read_b128 v[0:3], v252 offset:11648
	ds_read_b128 v[84:87], v252 offset:12480
	s_waitcnt vmcnt(1) lgkmcnt(1)
	v_mul_f64 v[8:9], v[2:3], v[60:61]
	v_fma_f64 v[120:121], v[0:1], v[58:59], -v[8:9]
	v_mul_f64 v[0:1], v[0:1], v[60:61]
	v_fma_f64 v[122:123], v[2:3], v[58:59], v[0:1]
	ds_read_b128 v[0:3], v252 offset:13312
	ds_read_b128 v[88:91], v252 offset:14144
	s_clause 0x1
	global_load_dwordx4 v[50:53], v34, s[14:15] offset:128
	global_load_dwordx4 v[42:45], v34, s[14:15] offset:144
	s_waitcnt vmcnt(2) lgkmcnt(1)
	v_mul_f64 v[8:9], v[2:3], v[56:57]
	v_add_f64 v[82:83], v[118:119], v[122:123]
	v_fma_f64 v[124:125], v[0:1], v[54:55], -v[8:9]
	v_mul_f64 v[0:1], v[0:1], v[56:57]
	v_fma_f64 v[126:127], v[2:3], v[54:55], v[0:1]
	ds_read_b128 v[0:3], v252 offset:14976
	ds_read_b128 v[92:95], v252 offset:15808
	s_waitcnt vmcnt(1) lgkmcnt(1)
	v_mul_f64 v[8:9], v[2:3], v[52:53]
	v_fma_f64 v[128:129], v[0:1], v[50:51], -v[8:9]
	v_mul_f64 v[0:1], v[0:1], v[52:53]
	v_fma_f64 v[130:131], v[2:3], v[50:51], v[0:1]
	ds_read_b128 v[0:3], v252 offset:16640
	ds_read_b128 v[96:99], v252 offset:17472
	s_clause 0x1
	global_load_dwordx4 v[38:41], v34, s[14:15] offset:160
	global_load_dwordx4 v[34:37], v34, s[14:15] offset:176
	s_waitcnt vmcnt(2) lgkmcnt(1)
	v_mul_f64 v[8:9], v[2:3], v[44:45]
	v_fma_f64 v[132:133], v[0:1], v[42:43], -v[8:9]
	v_mul_f64 v[0:1], v[0:1], v[44:45]
	v_fma_f64 v[134:135], v[2:3], v[42:43], v[0:1]
	ds_read_b128 v[0:3], v252 offset:18304
	ds_read_b128 v[182:185], v252 offset:19136
	s_waitcnt vmcnt(1) lgkmcnt(1)
	v_mul_f64 v[8:9], v[2:3], v[40:41]
	v_fma_f64 v[136:137], v[0:1], v[38:39], -v[8:9]
	v_mul_f64 v[0:1], v[0:1], v[40:41]
	v_fma_f64 v[138:139], v[2:3], v[38:39], v[0:1]
	ds_read_b128 v[0:3], v252 offset:19968
	ds_read_b128 v[186:189], v252 offset:20800
	s_waitcnt vmcnt(0) lgkmcnt(1)
	v_mul_f64 v[8:9], v[2:3], v[36:37]
	v_fma_f64 v[140:141], v[0:1], v[34:35], -v[8:9]
	v_mul_f64 v[0:1], v[0:1], v[36:37]
	v_fma_f64 v[142:143], v[2:3], v[34:35], v[0:1]
	v_mul_f64 v[0:1], v[12:13], v[48:49]
	v_add_f64 v[196:197], v[6:7], v[142:143]
	v_fma_f64 v[8:9], v[10:11], v[46:47], -v[0:1]
	v_mul_f64 v[0:1], v[10:11], v[48:49]
	buffer_store_dword v46, off, s[52:55], 0 offset:964 ; 4-byte Folded Spill
	buffer_store_dword v47, off, s[52:55], 0 offset:968 ; 4-byte Folded Spill
	;; [unrolled: 1-line block ×4, first 2 shown]
	v_fma_f64 v[10:11], v[12:13], v[46:47], v[0:1]
	v_mul_f64 v[0:1], v[16:17], v[64:65]
	v_fma_f64 v[144:145], v[14:15], v[62:63], -v[0:1]
	v_mul_f64 v[0:1], v[14:15], v[64:65]
	buffer_store_dword v62, off, s[52:55], 0 offset:1028 ; 4-byte Folded Spill
	buffer_store_dword v63, off, s[52:55], 0 offset:1032 ; 4-byte Folded Spill
	buffer_store_dword v64, off, s[52:55], 0 offset:1036 ; 4-byte Folded Spill
	buffer_store_dword v65, off, s[52:55], 0 offset:1040 ; 4-byte Folded Spill
	v_add_f64 v[64:65], v[108:109], -v[128:129]
	v_fma_f64 v[146:147], v[16:17], v[62:63], v[0:1]
	v_mul_f64 v[0:1], v[20:21], v[80:81]
	v_add_f64 v[62:63], v[108:109], v[128:129]
	v_fma_f64 v[148:149], v[18:19], v[78:79], -v[0:1]
	v_mul_f64 v[0:1], v[18:19], v[80:81]
	buffer_store_dword v78, off, s[52:55], 0 offset:1096 ; 4-byte Folded Spill
	buffer_store_dword v79, off, s[52:55], 0 offset:1100 ; 4-byte Folded Spill
	buffer_store_dword v80, off, s[52:55], 0 offset:1104 ; 4-byte Folded Spill
	buffer_store_dword v81, off, s[52:55], 0 offset:1108 ; 4-byte Folded Spill
	v_add_f64 v[80:81], v[116:117], -v[120:121]
	v_fma_f64 v[150:151], v[20:21], v[78:79], v[0:1]
	v_mul_f64 v[0:1], v[24:25], v[76:77]
	v_add_f64 v[78:79], v[116:117], v[120:121]
	;; [unrolled: 10-line block ×4, first 2 shown]
	v_add_f64 v[70:71], v[112:113], v[124:125]
	v_fma_f64 v[160:161], v[30:31], v[66:67], -v[0:1]
	v_mul_f64 v[0:1], v[30:31], v[68:69]
	buffer_store_dword v66, off, s[52:55], 0 offset:1044 ; 4-byte Folded Spill
	buffer_store_dword v67, off, s[52:55], 0 offset:1048 ; 4-byte Folded Spill
	buffer_store_dword v68, off, s[52:55], 0 offset:1052 ; 4-byte Folded Spill
	buffer_store_dword v69, off, s[52:55], 0 offset:1056 ; 4-byte Folded Spill
	v_add_f64 v[68:69], v[114:115], -v[126:127]
	v_fma_f64 v[162:163], v[32:33], v[66:67], v[0:1]
	v_mul_f64 v[0:1], v[86:87], v[60:61]
	v_add_f64 v[66:67], v[110:111], v[130:131]
	v_fma_f64 v[164:165], v[84:85], v[58:59], -v[0:1]
	v_mul_f64 v[0:1], v[84:85], v[60:61]
	buffer_store_dword v58, off, s[52:55], 0 offset:1012 ; 4-byte Folded Spill
	buffer_store_dword v59, off, s[52:55], 0 offset:1016 ; 4-byte Folded Spill
	buffer_store_dword v60, off, s[52:55], 0 offset:1020 ; 4-byte Folded Spill
	buffer_store_dword v61, off, s[52:55], 0 offset:1024 ; 4-byte Folded Spill
	v_add_f64 v[60:61], v[110:111], -v[130:131]
	v_fma_f64 v[166:167], v[86:87], v[58:59], v[0:1]
	v_mul_f64 v[0:1], v[90:91], v[56:57]
	;; [unrolled: 10-line block ×4, first 2 shown]
	v_fma_f64 v[176:177], v[96:97], v[42:43], -v[0:1]
	v_mul_f64 v[0:1], v[96:97], v[44:45]
	buffer_store_dword v42, off, s[52:55], 0 offset:948 ; 4-byte Folded Spill
	buffer_store_dword v43, off, s[52:55], 0 offset:952 ; 4-byte Folded Spill
	;; [unrolled: 1-line block ×4, first 2 shown]
	v_fma_f64 v[178:179], v[98:99], v[42:43], v[0:1]
	v_mul_f64 v[0:1], v[184:185], v[40:41]
	v_fma_f64 v[180:181], v[182:183], v[38:39], -v[0:1]
	v_mul_f64 v[0:1], v[182:183], v[40:41]
	buffer_store_dword v38, off, s[52:55], 0 offset:932 ; 4-byte Folded Spill
	buffer_store_dword v39, off, s[52:55], 0 offset:936 ; 4-byte Folded Spill
	;; [unrolled: 1-line block ×4, first 2 shown]
	v_fma_f64 v[182:183], v[184:185], v[38:39], v[0:1]
	s_waitcnt lgkmcnt(0)
	v_mul_f64 v[0:1], v[188:189], v[36:37]
	v_fma_f64 v[184:185], v[186:187], v[34:35], -v[0:1]
	v_mul_f64 v[0:1], v[186:187], v[36:37]
	buffer_store_dword v34, off, s[52:55], 0 offset:916 ; 4-byte Folded Spill
	buffer_store_dword v35, off, s[52:55], 0 offset:920 ; 4-byte Folded Spill
	;; [unrolled: 1-line block ×4, first 2 shown]
	v_fma_f64 v[186:187], v[188:189], v[34:35], v[0:1]
	v_add_f64 v[0:1], v[6:7], -v[142:143]
	v_add_f64 v[200:201], v[10:11], v[186:187]
	v_mul_f64 v[2:3], v[0:1], s[36:37]
	v_mul_f64 v[12:13], v[0:1], s[24:25]
	;; [unrolled: 1-line block ×6, first 2 shown]
	v_fma_f64 v[34:35], v[28:29], s[2:3], -v[2:3]
	v_fma_f64 v[32:33], v[28:29], s[2:3], v[2:3]
	v_fma_f64 v[30:31], v[28:29], s[6:7], -v[12:13]
	v_fma_f64 v[26:27], v[28:29], s[6:7], v[12:13]
	;; [unrolled: 2-line block ×6, first 2 shown]
	v_add_f64 v[0:1], v[4:5], -v[140:141]
	v_mul_f64 v[2:3], v[0:1], s[36:37]
	v_mul_f64 v[36:37], v[0:1], s[24:25]
	;; [unrolled: 1-line block ×6, first 2 shown]
	v_fma_f64 v[194:195], v[196:197], s[2:3], v[2:3]
	v_fma_f64 v[192:193], v[196:197], s[2:3], -v[2:3]
	v_fma_f64 v[190:191], v[196:197], s[6:7], v[36:37]
	v_fma_f64 v[188:189], v[196:197], s[6:7], -v[36:37]
	;; [unrolled: 2-line block ×4, first 2 shown]
	ds_read_b128 v[0:3], v252
	ds_read_b128 v[236:239], v252 offset:832
	v_fma_f64 v[98:99], v[196:197], s[16:17], v[38:39]
	v_fma_f64 v[96:97], v[196:197], s[16:17], -v[38:39]
	v_fma_f64 v[94:95], v[196:197], s[18:19], v[84:85]
	v_fma_f64 v[92:93], v[196:197], s[18:19], -v[84:85]
	s_waitcnt lgkmcnt(1)
	v_add_f64 v[224:225], v[0:1], v[4:5]
	v_add_f64 v[4:5], v[0:1], v[34:35]
	;; [unrolled: 1-line block ×13, first 2 shown]
	v_add_f64 v[0:1], v[10:11], -v[186:187]
	v_add_f64 v[226:227], v[2:3], v[6:7]
	v_add_f64 v[6:7], v[2:3], v[194:195]
	;; [unrolled: 1-line block ×14, first 2 shown]
	s_waitcnt lgkmcnt(0)
	v_add_f64 v[232:233], v[236:237], v[8:9]
	v_add_f64 v[234:235], v[238:239], v[10:11]
	v_mul_f64 v[10:11], v[52:53], s[30:31]
	v_mul_f64 v[2:3], v[0:1], s[36:37]
	;; [unrolled: 1-line block ×7, first 2 shown]
	v_fma_f64 v[22:23], v[20:21], s[2:3], -v[2:3]
	v_fma_f64 v[2:3], v[20:21], s[2:3], v[2:3]
	v_fma_f64 v[28:29], v[20:21], s[6:7], -v[12:13]
	v_fma_f64 v[12:13], v[20:21], s[6:7], v[12:13]
	;; [unrolled: 2-line block ×6, first 2 shown]
	v_add_f64 v[20:21], v[8:9], -v[184:185]
	v_add_f64 v[50:51], v[236:237], v[22:23]
	v_mul_f64 v[22:23], v[76:77], s[34:35]
	v_add_f64 v[230:231], v[236:237], v[28:29]
	v_add_f64 v[222:223], v[236:237], v[12:13]
	;; [unrolled: 1-line block ×4, first 2 shown]
	v_mul_f64 v[12:13], v[56:57], s[30:31]
	v_mul_f64 v[14:15], v[60:61], s[20:21]
	v_add_f64 v[194:195], v[236:237], v[194:195]
	v_add_f64 v[0:1], v[236:237], v[0:1]
	v_mul_f64 v[88:89], v[20:21], s[36:37]
	v_mul_f64 v[90:91], v[20:21], s[24:25]
	;; [unrolled: 1-line block ×6, first 2 shown]
	buffer_store_dword v0, off, s[52:55], 0 offset:28 ; 4-byte Folded Spill
	buffer_store_dword v1, off, s[52:55], 0 offset:32 ; 4-byte Folded Spill
	v_fma_f64 v[206:207], v[200:201], s[2:3], v[88:89]
	v_fma_f64 v[210:211], v[200:201], s[6:7], -v[90:91]
	v_fma_f64 v[208:209], v[200:201], s[6:7], v[90:91]
	v_fma_f64 v[212:213], v[200:201], s[16:17], v[190:191]
	v_fma_f64 v[190:191], v[200:201], s[16:17], -v[190:191]
	v_fma_f64 v[48:49], v[200:201], s[28:29], v[20:21]
	v_fma_f64 v[20:21], v[200:201], s[28:29], -v[20:21]
	;; [unrolled: 2-line block ×4, first 2 shown]
	v_fma_f64 v[88:89], v[200:201], s[2:3], -v[88:89]
	v_add_f64 v[90:91], v[236:237], v[2:3]
	v_add_f64 v[200:201], v[238:239], v[206:207]
	;; [unrolled: 1-line block ×8, first 2 shown]
	v_add_f64 v[48:49], v[102:103], -v[138:139]
	buffer_store_dword v0, off, s[52:55], 0 offset:452 ; 4-byte Folded Spill
	buffer_store_dword v1, off, s[52:55], 0 offset:456 ; 4-byte Folded Spill
	v_add_f64 v[216:217], v[238:239], v[212:213]
	v_add_f64 v[212:213], v[238:239], v[190:191]
	;; [unrolled: 1-line block ×9, first 2 shown]
	v_mul_f64 v[0:1], v[48:49], s[24:25]
	v_add_f64 v[236:237], v[100:101], -v[136:137]
	v_add_f64 v[88:89], v[238:239], v[88:89]
	v_add_f64 v[238:239], v[102:103], v[138:139]
	v_mul_f64 v[16:17], v[64:65], s[20:21]
	v_mul_f64 v[18:19], v[68:69], s[26:27]
	;; [unrolled: 1-line block ×3, first 2 shown]
	v_fma_f64 v[2:3], v[198:199], s[6:7], -v[0:1]
	v_mul_f64 v[8:9], v[236:237], s[24:25]
	v_fma_f64 v[0:1], v[198:199], s[6:7], v[0:1]
	v_add_f64 v[2:3], v[2:3], v[4:5]
	v_fma_f64 v[4:5], v[238:239], s[6:7], v[8:9]
	v_add_f64 v[0:1], v[0:1], v[32:33]
	v_fma_f64 v[8:9], v[238:239], s[6:7], -v[8:9]
	v_mul_f64 v[32:33], v[72:73], s[38:39]
	v_add_f64 v[4:5], v[4:5], v[6:7]
	v_fma_f64 v[6:7], v[54:55], s[16:17], -v[10:11]
	v_fma_f64 v[10:11], v[54:55], s[16:17], v[10:11]
	v_add_f64 v[8:9], v[8:9], v[34:35]
	v_mul_f64 v[34:35], v[76:77], s[40:41]
	v_add_f64 v[2:3], v[6:7], v[2:3]
	v_fma_f64 v[6:7], v[58:59], s[16:17], v[12:13]
	v_add_f64 v[0:1], v[10:11], v[0:1]
	v_fma_f64 v[10:11], v[58:59], s[16:17], -v[12:13]
	v_add_f64 v[4:5], v[6:7], v[4:5]
	v_fma_f64 v[6:7], v[62:63], s[18:19], -v[14:15]
	v_add_f64 v[8:9], v[10:11], v[8:9]
	v_fma_f64 v[10:11], v[62:63], s[18:19], v[14:15]
	v_add_f64 v[2:3], v[6:7], v[2:3]
	v_fma_f64 v[6:7], v[66:67], s[18:19], v[16:17]
	v_add_f64 v[0:1], v[10:11], v[0:1]
	v_fma_f64 v[10:11], v[66:67], s[18:19], -v[16:17]
	v_mul_f64 v[16:17], v[236:237], s[20:21]
	v_add_f64 v[4:5], v[6:7], v[4:5]
	v_fma_f64 v[6:7], v[70:71], s[22:23], -v[18:19]
	v_add_f64 v[8:9], v[10:11], v[8:9]
	v_fma_f64 v[10:11], v[70:71], s[22:23], v[18:19]
	v_mul_f64 v[18:19], v[52:53], s[34:35]
	v_fma_f64 v[12:13], v[238:239], s[18:19], v[16:17]
	v_fma_f64 v[16:17], v[238:239], s[18:19], -v[16:17]
	v_add_f64 v[2:3], v[6:7], v[2:3]
	v_fma_f64 v[6:7], v[74:75], s[22:23], v[20:21]
	v_add_f64 v[0:1], v[10:11], v[0:1]
	v_fma_f64 v[10:11], v[74:75], s[22:23], -v[20:21]
	v_fma_f64 v[14:15], v[54:55], s[28:29], -v[18:19]
	v_mul_f64 v[20:21], v[56:57], s[34:35]
	v_add_f64 v[12:13], v[12:13], v[36:37]
	v_fma_f64 v[18:19], v[54:55], s[28:29], v[18:19]
	v_add_f64 v[16:17], v[16:17], v[38:39]
	v_mul_f64 v[38:39], v[76:77], s[26:27]
	v_add_f64 v[6:7], v[6:7], v[4:5]
	v_fma_f64 v[4:5], v[78:79], s[28:29], -v[22:23]
	v_add_f64 v[8:9], v[10:11], v[8:9]
	v_fma_f64 v[10:11], v[78:79], s[28:29], v[22:23]
	v_mul_f64 v[22:23], v[60:61], s[44:45]
	v_add_f64 v[4:5], v[4:5], v[2:3]
	v_mul_f64 v[2:3], v[80:81], s[34:35]
	v_add_f64 v[0:1], v[10:11], v[0:1]
	v_fma_f64 v[28:29], v[82:83], s[28:29], v[2:3]
	v_fma_f64 v[2:3], v[82:83], s[28:29], -v[2:3]
	v_add_f64 v[6:7], v[28:29], v[6:7]
	v_add_f64 v[2:3], v[2:3], v[8:9]
	v_mul_f64 v[8:9], v[48:49], s[20:21]
	v_mul_f64 v[28:29], v[64:65], s[44:45]
	v_fma_f64 v[10:11], v[198:199], s[18:19], -v[8:9]
	v_fma_f64 v[8:9], v[198:199], s[18:19], v[8:9]
	v_add_f64 v[10:11], v[10:11], v[30:31]
	v_add_f64 v[8:9], v[8:9], v[26:27]
	v_mul_f64 v[30:31], v[68:69], s[38:39]
	v_mul_f64 v[26:27], v[52:53], s[48:49]
	v_add_f64 v[10:11], v[14:15], v[10:11]
	v_fma_f64 v[14:15], v[58:59], s[28:29], v[20:21]
	v_add_f64 v[8:9], v[18:19], v[8:9]
	v_fma_f64 v[18:19], v[58:59], s[28:29], -v[20:21]
	v_add_f64 v[12:13], v[14:15], v[12:13]
	v_fma_f64 v[14:15], v[62:63], s[22:23], -v[22:23]
	v_add_f64 v[16:17], v[18:19], v[16:17]
	v_fma_f64 v[18:19], v[62:63], s[22:23], v[22:23]
	v_fma_f64 v[22:23], v[54:55], s[18:19], -v[26:27]
	v_fma_f64 v[26:27], v[54:55], s[18:19], v[26:27]
	v_add_f64 v[10:11], v[14:15], v[10:11]
	v_fma_f64 v[14:15], v[66:67], s[22:23], v[28:29]
	v_add_f64 v[8:9], v[18:19], v[8:9]
	v_fma_f64 v[18:19], v[66:67], s[22:23], -v[28:29]
	v_mul_f64 v[28:29], v[56:57], s[48:49]
	v_add_f64 v[12:13], v[14:15], v[12:13]
	v_fma_f64 v[14:15], v[70:71], s[16:17], -v[30:31]
	v_add_f64 v[16:17], v[18:19], v[16:17]
	v_fma_f64 v[18:19], v[70:71], s[16:17], v[30:31]
	v_mul_f64 v[30:31], v[60:61], s[40:41]
	v_add_f64 v[10:11], v[14:15], v[10:11]
	v_fma_f64 v[14:15], v[74:75], s[16:17], v[32:33]
	v_add_f64 v[8:9], v[18:19], v[8:9]
	v_fma_f64 v[18:19], v[74:75], s[16:17], -v[32:33]
	v_mul_f64 v[32:33], v[64:65], s[40:41]
	v_add_f64 v[14:15], v[14:15], v[12:13]
	v_fma_f64 v[12:13], v[78:79], s[2:3], -v[34:35]
	v_add_f64 v[16:17], v[18:19], v[16:17]
	v_fma_f64 v[18:19], v[78:79], s[2:3], v[34:35]
	v_mul_f64 v[34:35], v[68:69], s[24:25]
	v_add_f64 v[12:13], v[12:13], v[10:11]
	v_mul_f64 v[10:11], v[80:81], s[40:41]
	v_add_f64 v[8:9], v[18:19], v[8:9]
	v_fma_f64 v[36:37], v[82:83], s[2:3], v[10:11]
	v_fma_f64 v[10:11], v[82:83], s[2:3], -v[10:11]
	v_add_f64 v[14:15], v[36:37], v[14:15]
	v_add_f64 v[10:11], v[10:11], v[16:17]
	v_mul_f64 v[16:17], v[48:49], s[34:35]
	v_mul_f64 v[36:37], v[72:73], s[24:25]
	v_fma_f64 v[18:19], v[198:199], s[28:29], -v[16:17]
	v_fma_f64 v[16:17], v[198:199], s[28:29], v[16:17]
	v_add_f64 v[18:19], v[18:19], v[24:25]
	v_mul_f64 v[24:25], v[236:237], s[34:35]
	v_add_f64 v[16:17], v[16:17], v[240:241]
	v_add_f64 v[18:19], v[22:23], v[18:19]
	v_fma_f64 v[20:21], v[238:239], s[28:29], v[24:25]
	v_fma_f64 v[22:23], v[58:59], s[18:19], v[28:29]
	v_fma_f64 v[24:25], v[238:239], s[28:29], -v[24:25]
	v_add_f64 v[16:17], v[26:27], v[16:17]
	v_fma_f64 v[26:27], v[58:59], s[18:19], -v[28:29]
	v_add_f64 v[20:21], v[20:21], v[98:99]
	v_mul_f64 v[98:99], v[76:77], s[42:43]
	v_add_f64 v[24:25], v[24:25], v[96:97]
	v_mul_f64 v[96:97], v[72:73], s[46:47]
	v_add_f64 v[20:21], v[22:23], v[20:21]
	v_fma_f64 v[22:23], v[62:63], s[2:3], -v[30:31]
	v_add_f64 v[24:25], v[26:27], v[24:25]
	v_fma_f64 v[26:27], v[62:63], s[2:3], v[30:31]
	v_add_f64 v[18:19], v[22:23], v[18:19]
	v_fma_f64 v[22:23], v[66:67], s[2:3], v[32:33]
	v_add_f64 v[16:17], v[26:27], v[16:17]
	v_fma_f64 v[26:27], v[66:67], s[2:3], -v[32:33]
	v_mul_f64 v[32:33], v[236:237], s[44:45]
	v_add_f64 v[20:21], v[22:23], v[20:21]
	v_fma_f64 v[22:23], v[70:71], s[6:7], -v[34:35]
	v_add_f64 v[24:25], v[26:27], v[24:25]
	v_fma_f64 v[26:27], v[70:71], s[6:7], v[34:35]
	v_mul_f64 v[34:35], v[52:53], s[40:41]
	v_fma_f64 v[28:29], v[238:239], s[22:23], v[32:33]
	v_fma_f64 v[32:33], v[238:239], s[22:23], -v[32:33]
	v_add_f64 v[18:19], v[22:23], v[18:19]
	v_fma_f64 v[22:23], v[74:75], s[6:7], v[36:37]
	v_add_f64 v[16:17], v[26:27], v[16:17]
	v_fma_f64 v[26:27], v[74:75], s[6:7], -v[36:37]
	v_fma_f64 v[30:31], v[54:55], s[2:3], -v[34:35]
	v_mul_f64 v[36:37], v[56:57], s[40:41]
	v_add_f64 v[28:29], v[28:29], v[94:95]
	v_fma_f64 v[34:35], v[54:55], s[2:3], v[34:35]
	v_mul_f64 v[94:95], v[68:69], s[46:47]
	v_add_f64 v[32:33], v[32:33], v[92:93]
	v_add_f64 v[22:23], v[22:23], v[20:21]
	v_fma_f64 v[20:21], v[78:79], s[22:23], -v[38:39]
	v_add_f64 v[24:25], v[26:27], v[24:25]
	v_fma_f64 v[26:27], v[78:79], s[22:23], v[38:39]
	v_mul_f64 v[38:39], v[60:61], s[30:31]
	v_add_f64 v[20:21], v[20:21], v[18:19]
	v_mul_f64 v[18:19], v[80:81], s[26:27]
	v_add_f64 v[16:17], v[26:27], v[16:17]
	v_fma_f64 v[86:87], v[82:83], s[22:23], v[18:19]
	v_fma_f64 v[18:19], v[82:83], s[22:23], -v[18:19]
	v_add_f64 v[22:23], v[86:87], v[22:23]
	v_add_f64 v[18:19], v[18:19], v[24:25]
	v_mul_f64 v[24:25], v[48:49], s[44:45]
	v_mul_f64 v[86:87], v[64:65], s[30:31]
	v_fma_f64 v[26:27], v[198:199], s[22:23], -v[24:25]
	v_fma_f64 v[24:25], v[198:199], s[22:23], v[24:25]
	v_add_f64 v[26:27], v[26:27], v[242:243]
	v_add_f64 v[24:25], v[24:25], v[244:245]
	;; [unrolled: 1-line block ×3, first 2 shown]
	v_fma_f64 v[30:31], v[58:59], s[2:3], v[36:37]
	v_add_f64 v[24:25], v[34:35], v[24:25]
	v_fma_f64 v[34:35], v[58:59], s[2:3], -v[36:37]
	v_mul_f64 v[36:37], v[48:49], s[38:39]
	v_add_f64 v[28:29], v[30:31], v[28:29]
	v_fma_f64 v[30:31], v[62:63], s[16:17], -v[38:39]
	v_add_f64 v[32:33], v[34:35], v[32:33]
	v_fma_f64 v[34:35], v[62:63], s[16:17], v[38:39]
	v_mul_f64 v[38:39], v[236:237], s[38:39]
	v_add_f64 v[26:27], v[30:31], v[26:27]
	v_fma_f64 v[30:31], v[66:67], s[16:17], v[86:87]
	v_add_f64 v[24:25], v[34:35], v[24:25]
	v_fma_f64 v[34:35], v[66:67], s[16:17], -v[86:87]
	v_mul_f64 v[86:87], v[52:53], s[24:25]
	v_mul_f64 v[52:53], v[52:53], s[26:27]
	v_add_f64 v[28:29], v[30:31], v[28:29]
	v_fma_f64 v[30:31], v[70:71], s[28:29], -v[94:95]
	v_add_f64 v[32:33], v[34:35], v[32:33]
	v_fma_f64 v[34:35], v[70:71], s[28:29], v[94:95]
	v_fma_f64 v[92:93], v[54:55], s[6:7], -v[86:87]
	v_add_f64 v[26:27], v[30:31], v[26:27]
	v_fma_f64 v[30:31], v[74:75], s[28:29], v[96:97]
	v_add_f64 v[24:25], v[34:35], v[24:25]
	v_fma_f64 v[34:35], v[74:75], s[28:29], -v[96:97]
	v_add_f64 v[30:31], v[30:31], v[28:29]
	v_fma_f64 v[28:29], v[78:79], s[6:7], -v[98:99]
	v_add_f64 v[32:33], v[34:35], v[32:33]
	v_fma_f64 v[34:35], v[78:79], s[6:7], v[98:99]
	v_add_f64 v[28:29], v[28:29], v[26:27]
	v_mul_f64 v[26:27], v[80:81], s[42:43]
	v_add_f64 v[24:25], v[34:35], v[24:25]
	v_fma_f64 v[34:35], v[238:239], s[16:17], v[38:39]
	v_fma_f64 v[38:39], v[238:239], s[16:17], -v[38:39]
	v_fma_f64 v[240:241], v[82:83], s[6:7], v[26:27]
	v_fma_f64 v[26:27], v[82:83], s[6:7], -v[26:27]
	v_add_f64 v[34:35], v[34:35], v[248:249]
	v_add_f64 v[38:39], v[38:39], v[84:85]
	v_fma_f64 v[84:85], v[54:55], s[6:7], v[86:87]
	v_add_f64 v[248:249], v[150:151], -v[178:179]
	v_add_f64 v[30:31], v[240:241], v[30:31]
	v_add_f64 v[26:27], v[26:27], v[32:33]
	v_fma_f64 v[32:33], v[198:199], s[16:17], -v[36:37]
	v_fma_f64 v[36:37], v[198:199], s[16:17], v[36:37]
	v_add_f64 v[32:33], v[32:33], v[246:247]
	v_add_f64 v[36:37], v[36:37], v[250:251]
	v_add_f64 v[250:251], v[148:149], -v[176:177]
	v_add_f64 v[32:33], v[92:93], v[32:33]
	v_mul_f64 v[92:93], v[56:57], s[24:25]
	v_add_f64 v[36:37], v[84:85], v[36:37]
	v_mul_f64 v[56:57], v[56:57], s[26:27]
	v_fma_f64 v[94:95], v[58:59], s[6:7], v[92:93]
	v_fma_f64 v[84:85], v[58:59], s[6:7], -v[92:93]
	v_add_f64 v[34:35], v[94:95], v[34:35]
	v_mul_f64 v[94:95], v[60:61], s[46:47]
	v_add_f64 v[38:39], v[84:85], v[38:39]
	v_mul_f64 v[60:61], v[60:61], s[42:43]
	v_fma_f64 v[96:97], v[62:63], s[28:29], -v[94:95]
	v_fma_f64 v[84:85], v[62:63], s[28:29], v[94:95]
	v_fma_f64 v[94:95], v[54:55], s[22:23], -v[52:53]
	v_add_f64 v[32:33], v[96:97], v[32:33]
	v_mul_f64 v[96:97], v[64:65], s[46:47]
	v_add_f64 v[36:37], v[84:85], v[36:37]
	v_mul_f64 v[64:65], v[64:65], s[42:43]
	v_fma_f64 v[98:99], v[66:67], s[28:29], v[96:97]
	v_fma_f64 v[84:85], v[66:67], s[28:29], -v[96:97]
	v_add_f64 v[34:35], v[98:99], v[34:35]
	v_mul_f64 v[98:99], v[68:69], s[40:41]
	v_add_f64 v[38:39], v[84:85], v[38:39]
	v_mul_f64 v[68:69], v[68:69], s[20:21]
	v_fma_f64 v[240:241], v[70:71], s[2:3], -v[98:99]
	v_fma_f64 v[84:85], v[70:71], s[2:3], v[98:99]
	v_add_f64 v[32:33], v[240:241], v[32:33]
	v_mul_f64 v[240:241], v[72:73], s[40:41]
	v_add_f64 v[36:37], v[84:85], v[36:37]
	v_mul_f64 v[72:73], v[72:73], s[20:21]
	v_fma_f64 v[242:243], v[74:75], s[2:3], v[240:241]
	v_fma_f64 v[84:85], v[74:75], s[2:3], -v[240:241]
	v_add_f64 v[240:241], v[146:147], -v[182:183]
	v_add_f64 v[34:35], v[242:243], v[34:35]
	v_mul_f64 v[242:243], v[76:77], s[20:21]
	v_add_f64 v[38:39], v[84:85], v[38:39]
	v_mul_f64 v[76:77], v[76:77], s[38:39]
	v_fma_f64 v[244:245], v[78:79], s[18:19], -v[242:243]
	v_fma_f64 v[84:85], v[78:79], s[18:19], v[242:243]
	v_add_f64 v[242:243], v[144:145], -v[180:181]
	v_add_f64 v[32:33], v[244:245], v[32:33]
	v_mul_f64 v[244:245], v[80:81], s[20:21]
	v_add_f64 v[84:85], v[84:85], v[36:37]
	v_mul_f64 v[36:37], v[48:49], s[40:41]
	v_mul_f64 v[48:49], v[236:237], s[40:41]
	;; [unrolled: 1-line block ×3, first 2 shown]
	v_add_f64 v[236:237], v[144:145], v[180:181]
	v_fma_f64 v[86:87], v[82:83], s[18:19], -v[244:245]
	v_fma_f64 v[246:247], v[82:83], s[18:19], v[244:245]
	v_add_f64 v[244:245], v[148:149], v[176:177]
	v_fma_f64 v[92:93], v[238:239], s[2:3], v[48:49]
	v_add_f64 v[86:87], v[86:87], v[38:39]
	v_fma_f64 v[38:39], v[198:199], s[2:3], -v[36:37]
	v_fma_f64 v[36:37], v[198:199], s[2:3], v[36:37]
	v_add_f64 v[92:93], v[92:93], v[204:205]
	v_add_f64 v[34:35], v[246:247], v[34:35]
	;; [unrolled: 1-line block ×6, first 2 shown]
	v_fma_f64 v[40:41], v[62:63], s[6:7], v[60:61]
	v_add_f64 v[38:39], v[94:95], v[38:39]
	v_fma_f64 v[94:95], v[58:59], s[22:23], v[56:57]
	v_add_f64 v[92:93], v[94:95], v[92:93]
	v_fma_f64 v[94:95], v[62:63], s[6:7], -v[60:61]
	v_add_f64 v[60:61], v[154:155], v[174:175]
	v_add_f64 v[38:39], v[94:95], v[38:39]
	v_fma_f64 v[94:95], v[66:67], s[6:7], v[64:65]
	v_add_f64 v[92:93], v[94:95], v[92:93]
	v_fma_f64 v[94:95], v[70:71], s[18:19], -v[68:69]
	v_add_f64 v[38:39], v[94:95], v[38:39]
	v_fma_f64 v[94:95], v[74:75], s[18:19], v[72:73]
	v_add_f64 v[94:95], v[94:95], v[92:93]
	v_fma_f64 v[92:93], v[78:79], s[16:17], -v[76:77]
	;; [unrolled: 4-line block ×3, first 2 shown]
	v_fma_f64 v[48:49], v[54:55], s[22:23], v[52:53]
	v_fma_f64 v[52:53], v[58:59], s[22:23], -v[56:57]
	v_add_f64 v[238:239], v[146:147], v[182:183]
	v_add_f64 v[54:55], v[152:153], v[172:173]
	;; [unrolled: 1-line block ×4, first 2 shown]
	v_fma_f64 v[48:49], v[70:71], s[18:19], v[68:69]
	v_fma_f64 v[42:43], v[66:67], s[6:7], -v[64:65]
	v_add_f64 v[66:67], v[156:157], v[168:169]
	v_add_f64 v[38:39], v[52:53], v[38:39]
	;; [unrolled: 1-line block ×3, first 2 shown]
	v_fma_f64 v[40:41], v[78:79], s[16:17], v[76:77]
	v_fma_f64 v[52:53], v[74:75], s[18:19], -v[72:73]
	v_add_f64 v[72:73], v[158:159], v[170:171]
	v_add_f64 v[78:79], v[160:161], v[164:165]
	;; [unrolled: 1-line block ×4, first 2 shown]
	v_fma_f64 v[42:43], v[82:83], s[16:17], -v[80:81]
	v_mul_f64 v[48:49], v[248:249], s[30:31]
	v_add_f64 v[38:39], v[52:53], v[38:39]
	v_add_f64 v[96:97], v[40:41], v[36:37]
	v_mul_f64 v[40:41], v[240:241], s[24:25]
	v_add_f64 v[98:99], v[42:43], v[38:39]
	v_mul_f64 v[42:43], v[242:243], s[24:25]
	v_fma_f64 v[36:37], v[236:237], s[6:7], -v[40:41]
	v_fma_f64 v[40:41], v[236:237], s[6:7], v[40:41]
	v_fma_f64 v[38:39], v[238:239], s[6:7], v[42:43]
	v_add_f64 v[36:37], v[36:37], v[50:51]
	v_fma_f64 v[50:51], v[244:245], s[16:17], -v[48:49]
	v_add_f64 v[40:41], v[40:41], v[90:91]
	v_fma_f64 v[42:43], v[238:239], s[6:7], -v[42:43]
	v_fma_f64 v[48:49], v[244:245], s[16:17], v[48:49]
	v_add_f64 v[38:39], v[38:39], v[200:201]
	v_add_f64 v[36:37], v[50:51], v[36:37]
	v_mul_f64 v[50:51], v[250:251], s[30:31]
	v_add_f64 v[42:43], v[42:43], v[88:89]
	v_add_f64 v[40:41], v[48:49], v[40:41]
	v_fma_f64 v[52:53], v[246:247], s[16:17], v[50:51]
	v_fma_f64 v[48:49], v[246:247], s[16:17], -v[50:51]
	v_add_f64 v[38:39], v[52:53], v[38:39]
	v_add_f64 v[52:53], v[154:155], -v[174:175]
	v_add_f64 v[42:43], v[48:49], v[42:43]
	v_mul_f64 v[56:57], v[52:53], s[20:21]
	v_fma_f64 v[58:59], v[54:55], s[18:19], -v[56:57]
	v_fma_f64 v[48:49], v[54:55], s[18:19], v[56:57]
	v_mul_f64 v[56:57], v[248:249], s[34:35]
	v_add_f64 v[36:37], v[58:59], v[36:37]
	v_add_f64 v[58:59], v[152:153], -v[172:173]
	v_add_f64 v[40:41], v[48:49], v[40:41]
	v_mul_f64 v[62:63], v[58:59], s[20:21]
	v_fma_f64 v[64:65], v[60:61], s[18:19], v[62:63]
	v_fma_f64 v[48:49], v[60:61], s[18:19], -v[62:63]
	v_fma_f64 v[62:63], v[244:245], s[28:29], -v[56:57]
	v_add_f64 v[38:39], v[64:65], v[38:39]
	v_add_f64 v[64:65], v[158:159], -v[170:171]
	v_add_f64 v[42:43], v[48:49], v[42:43]
	v_mul_f64 v[68:69], v[64:65], s[26:27]
	v_fma_f64 v[70:71], v[66:67], s[22:23], -v[68:69]
	v_fma_f64 v[48:49], v[66:67], s[22:23], v[68:69]
	v_add_f64 v[36:37], v[70:71], v[36:37]
	v_add_f64 v[70:71], v[156:157], -v[168:169]
	v_add_f64 v[40:41], v[48:49], v[40:41]
	v_mul_f64 v[74:75], v[70:71], s[26:27]
	v_fma_f64 v[76:77], v[72:73], s[22:23], v[74:75]
	v_fma_f64 v[48:49], v[72:73], s[22:23], -v[74:75]
	v_add_f64 v[38:39], v[76:77], v[38:39]
	v_add_f64 v[76:77], v[162:163], -v[166:167]
	v_add_f64 v[42:43], v[48:49], v[42:43]
	v_mul_f64 v[80:81], v[76:77], s[34:35]
	v_fma_f64 v[82:83], v[78:79], s[28:29], -v[80:81]
	v_fma_f64 v[48:49], v[78:79], s[28:29], v[80:81]
	v_add_f64 v[36:37], v[82:83], v[36:37]
	v_add_f64 v[82:83], v[160:161], -v[164:165]
	v_add_f64 v[88:89], v[48:49], v[40:41]
	v_add_f64 v[40:41], v[224:225], v[100:101]
	v_mul_f64 v[48:49], v[242:243], s[20:21]
	v_mul_f64 v[200:201], v[82:83], s[34:35]
	v_add_f64 v[40:41], v[40:41], v[104:105]
	v_fma_f64 v[50:51], v[198:199], s[28:29], -v[200:201]
	v_fma_f64 v[202:203], v[198:199], s[28:29], v[200:201]
	v_add_f64 v[40:41], v[40:41], v[108:109]
	v_mul_f64 v[108:109], v[70:71], s[24:25]
	v_add_f64 v[90:91], v[50:51], v[42:43]
	v_add_f64 v[42:43], v[226:227], v[102:103]
	;; [unrolled: 1-line block ×3, first 2 shown]
	v_fma_f64 v[50:51], v[238:239], s[18:19], v[48:49]
	v_fma_f64 v[48:49], v[238:239], s[18:19], -v[48:49]
	v_add_f64 v[38:39], v[202:203], v[38:39]
	v_add_f64 v[42:43], v[42:43], v[106:107]
	;; [unrolled: 1-line block ×5, first 2 shown]
	v_mul_f64 v[116:117], v[70:71], s[46:47]
	v_add_f64 v[42:43], v[42:43], v[110:111]
	v_add_f64 v[40:41], v[40:41], v[120:121]
	v_mul_f64 v[110:111], v[76:77], s[26:27]
	v_add_f64 v[42:43], v[42:43], v[114:115]
	v_add_f64 v[40:41], v[40:41], v[124:125]
	v_add_f64 v[42:43], v[42:43], v[118:119]
	v_add_f64 v[40:41], v[40:41], v[128:129]
	v_mul_f64 v[118:119], v[76:77], s[42:43]
	v_add_f64 v[42:43], v[42:43], v[122:123]
	v_add_f64 v[40:41], v[40:41], v[132:133]
	;; [unrolled: 5-line block ×3, first 2 shown]
	v_add_f64 v[40:41], v[232:233], v[144:145]
	v_add_f64 v[42:43], v[42:43], v[134:135]
	;; [unrolled: 1-line block ×22, first 2 shown]
	v_mul_f64 v[40:41], v[240:241], s[20:21]
	v_add_f64 v[42:43], v[42:43], v[178:179]
	v_add_f64 v[42:43], v[42:43], v[182:183]
	;; [unrolled: 1-line block ×3, first 2 shown]
	v_fma_f64 v[42:43], v[236:237], s[18:19], -v[40:41]
	v_fma_f64 v[40:41], v[236:237], s[18:19], v[40:41]
	v_add_f64 v[42:43], v[42:43], v[230:231]
	v_add_f64 v[40:41], v[40:41], v[222:223]
	;; [unrolled: 1-line block ×3, first 2 shown]
	v_mul_f64 v[62:63], v[250:251], s[34:35]
	v_fma_f64 v[68:69], v[246:247], s[28:29], v[62:63]
	v_add_f64 v[50:51], v[68:69], v[50:51]
	v_mul_f64 v[68:69], v[52:53], s[44:45]
	v_fma_f64 v[74:75], v[54:55], s[22:23], -v[68:69]
	v_add_f64 v[42:43], v[74:75], v[42:43]
	v_mul_f64 v[74:75], v[58:59], s[44:45]
	v_fma_f64 v[80:81], v[60:61], s[22:23], v[74:75]
	v_add_f64 v[50:51], v[80:81], v[50:51]
	v_mul_f64 v[80:81], v[64:65], s[38:39]
	v_fma_f64 v[100:101], v[66:67], s[16:17], -v[80:81]
	v_add_f64 v[42:43], v[100:101], v[42:43]
	;; [unrolled: 6-line block ×3, first 2 shown]
	v_mul_f64 v[42:43], v[82:83], s[40:41]
	v_fma_f64 v[104:105], v[198:199], s[2:3], v[42:43]
	v_fma_f64 v[42:43], v[198:199], s[2:3], -v[42:43]
	v_add_f64 v[130:131], v[104:105], v[50:51]
	v_fma_f64 v[50:51], v[244:245], s[28:29], v[56:57]
	v_mul_f64 v[56:57], v[248:249], s[48:49]
	v_add_f64 v[40:41], v[50:51], v[40:41]
	v_fma_f64 v[50:51], v[246:247], s[28:29], -v[62:63]
	v_fma_f64 v[62:63], v[244:245], s[18:19], -v[56:57]
	v_add_f64 v[48:49], v[50:51], v[48:49]
	v_fma_f64 v[50:51], v[54:55], s[22:23], v[68:69]
	v_add_f64 v[40:41], v[50:51], v[40:41]
	v_fma_f64 v[50:51], v[60:61], s[22:23], -v[74:75]
	v_add_f64 v[48:49], v[50:51], v[48:49]
	v_fma_f64 v[50:51], v[66:67], s[16:17], v[80:81]
	v_add_f64 v[40:41], v[50:51], v[40:41]
	;; [unrolled: 4-line block ×3, first 2 shown]
	v_add_f64 v[100:101], v[50:51], v[40:41]
	v_mul_f64 v[40:41], v[240:241], s[34:35]
	v_mul_f64 v[48:49], v[242:243], s[34:35]
	v_fma_f64 v[42:43], v[236:237], s[28:29], -v[40:41]
	v_fma_f64 v[50:51], v[238:239], s[28:29], v[48:49]
	v_fma_f64 v[40:41], v[236:237], s[28:29], v[40:41]
	v_fma_f64 v[48:49], v[238:239], s[28:29], -v[48:49]
	v_add_f64 v[42:43], v[42:43], v[218:219]
	v_add_f64 v[50:51], v[50:51], v[216:217]
	;; [unrolled: 1-line block ×5, first 2 shown]
	v_mul_f64 v[62:63], v[250:251], s[48:49]
	v_fma_f64 v[68:69], v[246:247], s[18:19], v[62:63]
	v_add_f64 v[50:51], v[68:69], v[50:51]
	v_mul_f64 v[68:69], v[52:53], s[40:41]
	v_fma_f64 v[74:75], v[54:55], s[2:3], -v[68:69]
	v_add_f64 v[42:43], v[74:75], v[42:43]
	v_mul_f64 v[74:75], v[58:59], s[40:41]
	v_fma_f64 v[80:81], v[60:61], s[2:3], v[74:75]
	v_add_f64 v[50:51], v[80:81], v[50:51]
	v_mul_f64 v[80:81], v[64:65], s[24:25]
	v_fma_f64 v[104:105], v[66:67], s[6:7], -v[80:81]
	v_add_f64 v[42:43], v[104:105], v[42:43]
	v_fma_f64 v[104:105], v[72:73], s[6:7], v[108:109]
	v_add_f64 v[50:51], v[104:105], v[50:51]
	v_fma_f64 v[104:105], v[78:79], s[22:23], -v[110:111]
	v_add_f64 v[104:105], v[104:105], v[42:43]
	v_mul_f64 v[42:43], v[82:83], s[26:27]
	v_fma_f64 v[106:107], v[198:199], s[22:23], v[42:43]
	v_fma_f64 v[42:43], v[198:199], s[22:23], -v[42:43]
	v_add_f64 v[106:107], v[106:107], v[50:51]
	v_fma_f64 v[50:51], v[244:245], s[18:19], v[56:57]
	v_mul_f64 v[56:57], v[248:249], s[40:41]
	v_add_f64 v[40:41], v[50:51], v[40:41]
	v_fma_f64 v[50:51], v[246:247], s[18:19], -v[62:63]
	v_fma_f64 v[62:63], v[244:245], s[2:3], -v[56:57]
	v_add_f64 v[48:49], v[50:51], v[48:49]
	v_fma_f64 v[50:51], v[54:55], s[2:3], v[68:69]
	v_add_f64 v[40:41], v[50:51], v[40:41]
	v_fma_f64 v[50:51], v[60:61], s[2:3], -v[74:75]
	v_add_f64 v[48:49], v[50:51], v[48:49]
	v_fma_f64 v[50:51], v[66:67], s[6:7], v[80:81]
	v_add_f64 v[40:41], v[50:51], v[40:41]
	;; [unrolled: 4-line block ×3, first 2 shown]
	v_add_f64 v[108:109], v[50:51], v[40:41]
	v_mul_f64 v[40:41], v[240:241], s[44:45]
	v_mul_f64 v[48:49], v[242:243], s[44:45]
	v_fma_f64 v[42:43], v[236:237], s[22:23], -v[40:41]
	v_fma_f64 v[50:51], v[238:239], s[22:23], v[48:49]
	v_fma_f64 v[40:41], v[236:237], s[22:23], v[40:41]
	v_fma_f64 v[48:49], v[238:239], s[22:23], -v[48:49]
	v_add_f64 v[42:43], v[42:43], v[210:211]
	v_add_f64 v[50:51], v[50:51], v[208:209]
	;; [unrolled: 1-line block ×5, first 2 shown]
	v_mul_f64 v[62:63], v[250:251], s[40:41]
	v_fma_f64 v[68:69], v[246:247], s[2:3], v[62:63]
	v_add_f64 v[50:51], v[68:69], v[50:51]
	v_mul_f64 v[68:69], v[52:53], s[30:31]
	v_fma_f64 v[74:75], v[54:55], s[16:17], -v[68:69]
	v_add_f64 v[42:43], v[74:75], v[42:43]
	v_mul_f64 v[74:75], v[58:59], s[30:31]
	v_fma_f64 v[80:81], v[60:61], s[16:17], v[74:75]
	v_add_f64 v[50:51], v[80:81], v[50:51]
	v_mul_f64 v[80:81], v[64:65], s[46:47]
	v_fma_f64 v[112:113], v[66:67], s[28:29], -v[80:81]
	v_add_f64 v[42:43], v[112:113], v[42:43]
	v_fma_f64 v[112:113], v[72:73], s[28:29], v[116:117]
	v_add_f64 v[50:51], v[112:113], v[50:51]
	v_fma_f64 v[112:113], v[78:79], s[6:7], -v[118:119]
	v_add_f64 v[112:113], v[112:113], v[42:43]
	v_mul_f64 v[42:43], v[82:83], s[42:43]
	v_fma_f64 v[114:115], v[198:199], s[6:7], v[42:43]
	v_fma_f64 v[42:43], v[198:199], s[6:7], -v[42:43]
	v_add_f64 v[114:115], v[114:115], v[50:51]
	v_fma_f64 v[50:51], v[244:245], s[2:3], v[56:57]
	v_add_f64 v[40:41], v[50:51], v[40:41]
	v_fma_f64 v[50:51], v[246:247], s[2:3], -v[62:63]
	v_add_f64 v[48:49], v[50:51], v[48:49]
	v_fma_f64 v[50:51], v[54:55], s[16:17], v[68:69]
	v_add_f64 v[40:41], v[50:51], v[40:41]
	;; [unrolled: 4-line block ×4, first 2 shown]
	v_mul_f64 v[48:49], v[242:243], s[38:39]
	v_add_f64 v[116:117], v[50:51], v[40:41]
	v_mul_f64 v[40:41], v[240:241], s[38:39]
	v_fma_f64 v[50:51], v[238:239], s[16:17], v[48:49]
	v_fma_f64 v[42:43], v[236:237], s[16:17], -v[40:41]
	v_fma_f64 v[40:41], v[236:237], s[16:17], v[40:41]
	v_add_f64 v[46:47], v[50:51], v[46:47]
	v_mul_f64 v[50:51], v[248:249], s[24:25]
	v_add_f64 v[42:43], v[42:43], v[188:189]
	v_add_f64 v[40:41], v[40:41], v[44:45]
	v_fma_f64 v[44:45], v[238:239], s[16:17], -v[48:49]
	v_mul_f64 v[48:49], v[248:249], s[26:27]
	v_fma_f64 v[56:57], v[244:245], s[6:7], -v[50:51]
	v_add_f64 v[44:45], v[44:45], v[196:197]
	v_add_f64 v[42:43], v[56:57], v[42:43]
	v_mul_f64 v[56:57], v[250:251], s[24:25]
	v_fma_f64 v[62:63], v[246:247], s[6:7], v[56:57]
	v_add_f64 v[46:47], v[62:63], v[46:47]
	v_mul_f64 v[62:63], v[52:53], s[46:47]
	v_mul_f64 v[52:53], v[52:53], s[42:43]
	v_fma_f64 v[68:69], v[54:55], s[28:29], -v[62:63]
	v_add_f64 v[42:43], v[68:69], v[42:43]
	v_mul_f64 v[68:69], v[58:59], s[46:47]
	v_fma_f64 v[74:75], v[60:61], s[28:29], v[68:69]
	v_add_f64 v[46:47], v[74:75], v[46:47]
	v_mul_f64 v[74:75], v[64:65], s[40:41]
	v_fma_f64 v[80:81], v[66:67], s[2:3], -v[74:75]
	v_add_f64 v[42:43], v[80:81], v[42:43]
	v_mul_f64 v[80:81], v[70:71], s[40:41]
	v_fma_f64 v[132:133], v[72:73], s[2:3], v[80:81]
	v_add_f64 v[46:47], v[132:133], v[46:47]
	v_fma_f64 v[132:133], v[78:79], s[18:19], -v[136:137]
	v_add_f64 v[132:133], v[132:133], v[42:43]
	v_mul_f64 v[42:43], v[82:83], s[20:21]
	v_fma_f64 v[134:135], v[198:199], s[18:19], v[42:43]
	v_fma_f64 v[42:43], v[198:199], s[18:19], -v[42:43]
	v_add_f64 v[134:135], v[134:135], v[46:47]
	v_fma_f64 v[46:47], v[244:245], s[6:7], v[50:51]
	v_fma_f64 v[50:51], v[244:245], s[22:23], -v[48:49]
	v_add_f64 v[40:41], v[46:47], v[40:41]
	v_fma_f64 v[46:47], v[246:247], s[6:7], -v[56:57]
	v_add_f64 v[44:45], v[46:47], v[44:45]
	v_fma_f64 v[46:47], v[54:55], s[28:29], v[62:63]
	v_add_f64 v[40:41], v[46:47], v[40:41]
	v_fma_f64 v[46:47], v[60:61], s[28:29], -v[68:69]
	v_mul_f64 v[68:69], v[82:83], s[38:39]
	v_add_f64 v[44:45], v[46:47], v[44:45]
	v_fma_f64 v[46:47], v[66:67], s[2:3], v[74:75]
	v_add_f64 v[40:41], v[46:47], v[40:41]
	v_fma_f64 v[46:47], v[72:73], s[2:3], -v[80:81]
	v_add_f64 v[44:45], v[46:47], v[44:45]
	v_fma_f64 v[46:47], v[78:79], s[18:19], v[136:137]
	v_add_f64 v[138:139], v[42:43], v[44:45]
	v_add_f64 v[136:137], v[46:47], v[40:41]
	v_mul_f64 v[40:41], v[240:241], s[40:41]
	v_mul_f64 v[44:45], v[242:243], s[40:41]
	v_add_co_u32 v240, null, 0xffffffe6, v253
	v_fma_f64 v[42:43], v[236:237], s[2:3], -v[40:41]
	v_fma_f64 v[46:47], v[238:239], s[2:3], v[44:45]
	v_fma_f64 v[40:41], v[236:237], s[2:3], v[40:41]
	v_add_f64 v[42:43], v[42:43], v[194:195]
	v_add_f64 v[46:47], v[46:47], v[192:193]
	;; [unrolled: 1-line block ×3, first 2 shown]
	v_mul_f64 v[50:51], v[250:251], s[26:27]
	v_fma_f64 v[56:57], v[246:247], s[22:23], v[50:51]
	v_add_f64 v[46:47], v[56:57], v[46:47]
	v_fma_f64 v[56:57], v[54:55], s[6:7], -v[52:53]
	v_add_f64 v[42:43], v[56:57], v[42:43]
	v_mul_f64 v[56:57], v[58:59], s[42:43]
	v_fma_f64 v[58:59], v[60:61], s[6:7], v[56:57]
	v_add_f64 v[46:47], v[58:59], v[46:47]
	v_mul_f64 v[58:59], v[64:65], s[20:21]
	v_fma_f64 v[62:63], v[66:67], s[18:19], -v[58:59]
	v_add_f64 v[42:43], v[62:63], v[42:43]
	v_mul_f64 v[62:63], v[70:71], s[20:21]
	v_fma_f64 v[64:65], v[72:73], s[18:19], v[62:63]
	v_add_f64 v[46:47], v[64:65], v[46:47]
	v_mul_f64 v[64:65], v[76:77], s[38:39]
	v_fma_f64 v[70:71], v[78:79], s[16:17], -v[64:65]
	v_add_f64 v[140:141], v[70:71], v[42:43]
	v_fma_f64 v[42:43], v[198:199], s[16:17], v[68:69]
	v_add_f64 v[142:143], v[42:43], v[46:47]
	v_fma_f64 v[42:43], v[238:239], s[2:3], -v[44:45]
	s_clause 0x1
	buffer_load_dword v44, off, s[52:55], 0 offset:28
	buffer_load_dword v45, off, s[52:55], 0 offset:32
	v_fma_f64 v[46:47], v[246:247], s[22:23], -v[50:51]
	s_waitcnt vmcnt(0)
	v_add_f64 v[40:41], v[40:41], v[44:45]
	s_clause 0x1
	buffer_load_dword v44, off, s[52:55], 0 offset:452
	buffer_load_dword v45, off, s[52:55], 0 offset:456
	s_waitcnt vmcnt(0)
	s_waitcnt_vscnt null, 0x0
	s_barrier
	buffer_gl0_inv
	v_add_f64 v[42:43], v[42:43], v[44:45]
	v_fma_f64 v[44:45], v[244:245], s[22:23], v[48:49]
	v_add_f64 v[42:43], v[46:47], v[42:43]
	v_add_f64 v[40:41], v[44:45], v[40:41]
	v_fma_f64 v[44:45], v[54:55], s[6:7], v[52:53]
	v_fma_f64 v[46:47], v[60:61], s[6:7], -v[56:57]
	v_add_f64 v[40:41], v[44:45], v[40:41]
	v_fma_f64 v[44:45], v[66:67], s[18:19], v[58:59]
	v_add_f64 v[42:43], v[46:47], v[42:43]
	v_fma_f64 v[46:47], v[72:73], s[18:19], -v[62:63]
	v_add_f64 v[40:41], v[44:45], v[40:41]
	v_fma_f64 v[44:45], v[78:79], s[16:17], v[64:65]
	v_add_f64 v[42:43], v[46:47], v[42:43]
	v_fma_f64 v[46:47], v[198:199], s[16:17], -v[68:69]
	v_add_f64 v[144:145], v[44:45], v[40:41]
	v_lshrrev_b32_e32 v40, 1, v253
	v_and_b32_e32 v41, 1, v253
	v_add_f64 v[146:147], v[46:47], v[42:43]
	v_mul_u32_u24_e32 v40, 26, v40
	v_or_b32_e32 v40, v40, v41
	v_lshlrev_b32_e32 v243, 4, v40
	ds_write_b128 v243, v[120:123]
	ds_write_b128 v243, v[4:7] offset:32
	ds_write_b128 v243, v[12:15] offset:64
	;; [unrolled: 1-line block ×12, first 2 shown]
	v_lshrrev_b32_e32 v0, 1, v255
	v_mul_u32_u24_e32 v0, 26, v0
	v_or_b32_e32 v0, v0, v41
	v_lshlrev_b32_e32 v241, 4, v0
	ds_write_b128 v241, v[124:127]
	ds_write_b128 v241, v[36:39] offset:32
	ds_write_b128 v241, v[128:131] offset:64
	;; [unrolled: 1-line block ×12, first 2 shown]
	buffer_load_dword v16, off, s[52:55], 0 ; 4-byte Folded Reload
	buffer_store_dword v253, off, s[52:55], 0 offset:28 ; 4-byte Folded Spill
	s_waitcnt vmcnt(0) lgkmcnt(0)
	s_waitcnt_vscnt null, 0x0
	s_barrier
	buffer_gl0_inv
	v_cmp_gt_u16_e32 vcc_lo, 26, v16
	v_cndmask_b32_e32 v242, v240, v253, vcc_lo
	v_mul_i32_i24_e32 v0, 0xc0, v242
	v_mul_hi_i32_i24_e32 v1, 0xc0, v242
	v_add_co_u32 v4, s0, s14, v0
	v_add_co_ci_u32_e64 v5, s0, s15, v1, s0
	s_clause 0x1
	global_load_dwordx4 v[8:11], v[4:5], off offset:384
	global_load_dwordx4 v[12:15], v[4:5], off offset:400
	ds_read_b128 v[0:3], v252 offset:1664
	ds_read_b128 v[36:39], v252 offset:2496
	v_cmp_lt_u16_e64 s0, 25, v16
	s_waitcnt vmcnt(1) lgkmcnt(1)
	v_mul_f64 v[6:7], v[2:3], v[10:11]
	v_fma_f64 v[88:89], v[0:1], v[8:9], -v[6:7]
	v_mul_f64 v[0:1], v[0:1], v[10:11]
	buffer_store_dword v8, off, s[52:55], 0 offset:772 ; 4-byte Folded Spill
	buffer_store_dword v9, off, s[52:55], 0 offset:776 ; 4-byte Folded Spill
	;; [unrolled: 1-line block ×4, first 2 shown]
	v_fma_f64 v[90:91], v[2:3], v[8:9], v[0:1]
	ds_read_b128 v[0:3], v252 offset:3328
	ds_read_b128 v[84:87], v252 offset:4160
	s_waitcnt vmcnt(0) lgkmcnt(1)
	v_mul_f64 v[6:7], v[2:3], v[14:15]
	v_fma_f64 v[100:101], v[0:1], v[12:13], -v[6:7]
	v_mul_f64 v[0:1], v[0:1], v[14:15]
	buffer_store_dword v12, off, s[52:55], 0 offset:852 ; 4-byte Folded Spill
	buffer_store_dword v13, off, s[52:55], 0 offset:856 ; 4-byte Folded Spill
	;; [unrolled: 1-line block ×4, first 2 shown]
	s_clause 0x1
	global_load_dwordx4 v[32:35], v[4:5], off offset:416
	global_load_dwordx4 v[24:27], v[4:5], off offset:432
	v_fma_f64 v[102:103], v[2:3], v[12:13], v[0:1]
	ds_read_b128 v[0:3], v252 offset:4992
	ds_read_b128 v[92:95], v252 offset:5824
	s_waitcnt vmcnt(1) lgkmcnt(1)
	v_mul_f64 v[6:7], v[2:3], v[34:35]
	v_fma_f64 v[108:109], v[0:1], v[32:33], -v[6:7]
	v_mul_f64 v[0:1], v[0:1], v[34:35]
	v_fma_f64 v[110:111], v[2:3], v[32:33], v[0:1]
	ds_read_b128 v[0:3], v252 offset:6656
	ds_read_b128 v[96:99], v252 offset:7488
	s_clause 0x1
	global_load_dwordx4 v[20:23], v[4:5], off offset:448
	global_load_dwordx4 v[8:11], v[4:5], off offset:464
	s_waitcnt vmcnt(2) lgkmcnt(1)
	v_mul_f64 v[6:7], v[2:3], v[26:27]
	v_fma_f64 v[112:113], v[0:1], v[24:25], -v[6:7]
	v_mul_f64 v[0:1], v[0:1], v[26:27]
	v_fma_f64 v[114:115], v[2:3], v[24:25], v[0:1]
	ds_read_b128 v[0:3], v252 offset:8320
	ds_read_b128 v[104:107], v252 offset:9152
	s_waitcnt vmcnt(1) lgkmcnt(1)
	v_mul_f64 v[6:7], v[2:3], v[22:23]
	v_fma_f64 v[116:117], v[0:1], v[20:21], -v[6:7]
	v_mul_f64 v[0:1], v[0:1], v[22:23]
	v_fma_f64 v[118:119], v[2:3], v[20:21], v[0:1]
	ds_read_b128 v[0:3], v252 offset:9984
	ds_read_b128 v[150:153], v252 offset:10816
	s_clause 0x1
	global_load_dwordx4 v[28:31], v[4:5], off offset:480
	global_load_dwordx4 v[12:15], v[4:5], off offset:496
	s_waitcnt vmcnt(2) lgkmcnt(1)
	v_mul_f64 v[6:7], v[2:3], v[10:11]
	v_fma_f64 v[120:121], v[0:1], v[8:9], -v[6:7]
	v_mul_f64 v[0:1], v[0:1], v[10:11]
	v_fma_f64 v[122:123], v[2:3], v[8:9], v[0:1]
	ds_read_b128 v[0:3], v252 offset:11648
	ds_read_b128 v[160:163], v252 offset:12480
	s_waitcnt vmcnt(1) lgkmcnt(1)
	v_mul_f64 v[6:7], v[2:3], v[30:31]
	v_fma_f64 v[124:125], v[0:1], v[28:29], -v[6:7]
	v_mul_f64 v[0:1], v[0:1], v[30:31]
	v_add_f64 v[246:247], v[120:121], v[124:125]
	v_fma_f64 v[126:127], v[2:3], v[28:29], v[0:1]
	ds_read_b128 v[0:3], v252 offset:13312
	ds_read_b128 v[168:171], v252 offset:14144
	s_waitcnt vmcnt(0) lgkmcnt(1)
	v_mul_f64 v[6:7], v[2:3], v[14:15]
	v_add_f64 v[244:245], v[122:123], -v[126:127]
	v_add_f64 v[250:251], v[122:123], v[126:127]
	v_fma_f64 v[128:129], v[0:1], v[12:13], -v[6:7]
	v_mul_f64 v[0:1], v[0:1], v[14:15]
	buffer_store_dword v12, off, s[52:55], 0 offset:1124 ; 4-byte Folded Spill
	buffer_store_dword v13, off, s[52:55], 0 offset:1128 ; 4-byte Folded Spill
	;; [unrolled: 1-line block ×4, first 2 shown]
	v_mul_f64 v[248:249], v[244:245], s[34:35]
	v_mul_f64 v[238:239], v[244:245], s[40:41]
	v_fma_f64 v[130:131], v[2:3], v[12:13], v[0:1]
	s_clause 0x1
	global_load_dwordx4 v[12:15], v[4:5], off offset:512
	global_load_dwordx4 v[40:43], v[4:5], off offset:528
	ds_read_b128 v[0:3], v252 offset:14976
	ds_read_b128 v[176:179], v252 offset:15808
	s_waitcnt vmcnt(1) lgkmcnt(1)
	v_mul_f64 v[6:7], v[2:3], v[14:15]
	v_fma_f64 v[132:133], v[0:1], v[12:13], -v[6:7]
	v_mul_f64 v[0:1], v[0:1], v[14:15]
	v_fma_f64 v[134:135], v[2:3], v[12:13], v[0:1]
	ds_read_b128 v[0:3], v252 offset:16640
	ds_read_b128 v[184:187], v252 offset:17472
	s_waitcnt vmcnt(0) lgkmcnt(1)
	v_mul_f64 v[6:7], v[2:3], v[42:43]
	v_fma_f64 v[136:137], v[0:1], v[40:41], -v[6:7]
	v_mul_f64 v[0:1], v[0:1], v[42:43]
	buffer_store_dword v40, off, s[52:55], 0 offset:820 ; 4-byte Folded Spill
	buffer_store_dword v41, off, s[52:55], 0 offset:824 ; 4-byte Folded Spill
	;; [unrolled: 1-line block ×4, first 2 shown]
	s_clause 0x1
	global_load_dwordx4 v[42:45], v[4:5], off offset:544
	global_load_dwordx4 v[4:7], v[4:5], off offset:560
	v_fma_f64 v[138:139], v[2:3], v[40:41], v[0:1]
	ds_read_b128 v[0:3], v252 offset:18304
	ds_read_b128 v[192:195], v252 offset:19136
	s_waitcnt vmcnt(1) lgkmcnt(1)
	v_mul_f64 v[40:41], v[2:3], v[44:45]
	v_add_f64 v[204:205], v[110:111], -v[138:139]
	v_fma_f64 v[140:141], v[0:1], v[42:43], -v[40:41]
	v_mul_f64 v[0:1], v[0:1], v[44:45]
	buffer_store_dword v42, off, s[52:55], 0 offset:900 ; 4-byte Folded Spill
	buffer_store_dword v43, off, s[52:55], 0 offset:904 ; 4-byte Folded Spill
	;; [unrolled: 1-line block ×4, first 2 shown]
	v_fma_f64 v[142:143], v[2:3], v[42:43], v[0:1]
	ds_read_b128 v[0:3], v252 offset:19968
	ds_read_b128 v[196:199], v252 offset:20800
	s_waitcnt vmcnt(0) lgkmcnt(1)
	v_mul_f64 v[40:41], v[2:3], v[6:7]
	v_add_f64 v[202:203], v[102:103], v[142:143]
	v_fma_f64 v[144:145], v[0:1], v[4:5], -v[40:41]
	v_mul_f64 v[0:1], v[0:1], v[6:7]
	v_add_f64 v[50:51], v[88:89], v[144:145]
	v_fma_f64 v[146:147], v[2:3], v[4:5], v[0:1]
	v_and_b32_e32 v0, 0xff, v255
	v_mul_lo_u16 v0, 0x4f, v0
	v_lshrrev_b16 v253, 11, v0
	v_mul_lo_u16 v0, v253, 26
	v_sub_nc_u16 v0, v255, v0
	v_add_f64 v[52:53], v[90:91], v[146:147]
	v_and_b32_e32 v255, 0xff, v0
	v_mad_u64_u32 v[40:41], null, 0xc0, v255, s[14:15]
	s_clause 0x1
	global_load_dwordx4 v[0:3], v[40:41], off offset:384
	global_load_dwordx4 v[44:47], v[40:41], off offset:400
	s_waitcnt vmcnt(1)
	v_mul_f64 v[42:43], v[38:39], v[2:3]
	v_fma_f64 v[188:189], v[36:37], v[0:1], -v[42:43]
	v_mul_f64 v[36:37], v[36:37], v[2:3]
	v_fma_f64 v[190:191], v[38:39], v[0:1], v[36:37]
	s_waitcnt vmcnt(0)
	v_mul_f64 v[36:37], v[86:87], v[46:47]
	v_fma_f64 v[180:181], v[84:85], v[44:45], -v[36:37]
	v_mul_f64 v[36:37], v[84:85], v[46:47]
	buffer_store_dword v44, off, s[52:55], 0 offset:884 ; 4-byte Folded Spill
	buffer_store_dword v45, off, s[52:55], 0 offset:888 ; 4-byte Folded Spill
	buffer_store_dword v46, off, s[52:55], 0 offset:892 ; 4-byte Folded Spill
	buffer_store_dword v47, off, s[52:55], 0 offset:896 ; 4-byte Folded Spill
	v_fma_f64 v[182:183], v[86:87], v[44:45], v[36:37]
	s_clause 0x1
	global_load_dwordx4 v[46:49], v[40:41], off offset:416
	global_load_dwordx4 v[42:45], v[40:41], off offset:432
	s_waitcnt vmcnt(1)
	v_mul_f64 v[36:37], v[94:95], v[48:49]
	v_fma_f64 v[172:173], v[92:93], v[46:47], -v[36:37]
	v_mul_f64 v[36:37], v[92:93], v[48:49]
	buffer_store_dword v46, off, s[52:55], 0 offset:868 ; 4-byte Folded Spill
	buffer_store_dword v47, off, s[52:55], 0 offset:872 ; 4-byte Folded Spill
	buffer_store_dword v48, off, s[52:55], 0 offset:876 ; 4-byte Folded Spill
	buffer_store_dword v49, off, s[52:55], 0 offset:880 ; 4-byte Folded Spill
	v_fma_f64 v[174:175], v[94:95], v[46:47], v[36:37]
	s_waitcnt vmcnt(0)
	v_mul_f64 v[36:37], v[98:99], v[44:45]
	v_fma_f64 v[164:165], v[96:97], v[42:43], -v[36:37]
	v_mul_f64 v[36:37], v[96:97], v[44:45]
	buffer_store_dword v42, off, s[52:55], 0 offset:836 ; 4-byte Folded Spill
	buffer_store_dword v43, off, s[52:55], 0 offset:840 ; 4-byte Folded Spill
	buffer_store_dword v44, off, s[52:55], 0 offset:844 ; 4-byte Folded Spill
	buffer_store_dword v45, off, s[52:55], 0 offset:848 ; 4-byte Folded Spill
	v_fma_f64 v[166:167], v[98:99], v[42:43], v[36:37]
	s_clause 0x1
	global_load_dwordx4 v[46:49], v[40:41], off offset:448
	global_load_dwordx4 v[42:45], v[40:41], off offset:464
	s_waitcnt vmcnt(1)
	v_mul_f64 v[36:37], v[106:107], v[48:49]
	v_fma_f64 v[156:157], v[104:105], v[46:47], -v[36:37]
	v_mul_f64 v[36:37], v[104:105], v[48:49]
	buffer_store_dword v46, off, s[52:55], 0 offset:804 ; 4-byte Folded Spill
	buffer_store_dword v47, off, s[52:55], 0 offset:808 ; 4-byte Folded Spill
	buffer_store_dword v48, off, s[52:55], 0 offset:812 ; 4-byte Folded Spill
	buffer_store_dword v49, off, s[52:55], 0 offset:816 ; 4-byte Folded Spill
	;; [unrolled: 21-line block ×5, first 2 shown]
	v_fma_f64 v[186:187], v[194:195], v[42:43], v[36:37]
	s_waitcnt vmcnt(0) lgkmcnt(0)
	v_mul_f64 v[36:37], v[198:199], v[40:41]
	v_fma_f64 v[192:193], v[196:197], v[38:39], -v[36:37]
	v_mul_f64 v[36:37], v[196:197], v[40:41]
	buffer_store_dword v38, off, s[52:55], 0 offset:676 ; 4-byte Folded Spill
	buffer_store_dword v39, off, s[52:55], 0 offset:680 ; 4-byte Folded Spill
	;; [unrolled: 1-line block ×4, first 2 shown]
	ds_read_b128 v[84:87], v252
	ds_read_b128 v[92:95], v252 offset:832
	s_waitcnt lgkmcnt(0)
	s_waitcnt_vscnt null, 0x0
	s_barrier
	buffer_gl0_inv
	v_fma_f64 v[194:195], v[198:199], v[38:39], v[36:37]
	v_add_f64 v[36:37], v[90:91], -v[146:147]
	v_mul_f64 v[38:39], v[36:37], s[36:37]
	v_mul_f64 v[40:41], v[36:37], s[24:25]
	;; [unrolled: 1-line block ×6, first 2 shown]
	v_fma_f64 v[210:211], v[50:51], s[2:3], -v[38:39]
	v_fma_f64 v[208:209], v[50:51], s[2:3], v[38:39]
	v_fma_f64 v[206:207], v[50:51], s[6:7], -v[40:41]
	v_fma_f64 v[38:39], v[50:51], s[6:7], v[40:41]
	v_add_f64 v[40:41], v[88:89], -v[144:145]
	v_fma_f64 v[36:37], v[50:51], s[16:17], -v[42:43]
	v_fma_f64 v[200:201], v[50:51], s[16:17], v[42:43]
	v_fma_f64 v[198:199], v[50:51], s[18:19], -v[44:45]
	v_fma_f64 v[106:107], v[50:51], s[18:19], v[44:45]
	;; [unrolled: 2-line block ×4, first 2 shown]
	v_add_f64 v[38:39], v[84:85], v[38:39]
	v_mul_f64 v[42:43], v[40:41], s[36:37]
	v_mul_f64 v[44:45], v[40:41], s[24:25]
	v_mul_f64 v[46:47], v[40:41], s[30:31]
	v_mul_f64 v[48:49], v[40:41], s[20:21]
	v_mul_f64 v[50:51], v[40:41], s[26:27]
	v_mul_f64 v[40:41], v[40:41], s[34:35]
	v_add_f64 v[36:37], v[84:85], v[36:37]
	v_add_f64 v[60:61], v[84:85], v[200:201]
	;; [unrolled: 1-line block ×8, first 2 shown]
	v_add_f64 v[200:201], v[100:101], -v[140:141]
	v_mul_f64 v[104:105], v[204:205], s[30:31]
	v_fma_f64 v[234:235], v[52:53], s[2:3], v[42:43]
	v_fma_f64 v[232:233], v[52:53], s[2:3], -v[42:43]
	v_fma_f64 v[230:231], v[52:53], s[6:7], v[44:45]
	v_fma_f64 v[228:229], v[52:53], s[6:7], -v[44:45]
	;; [unrolled: 2-line block ×6, first 2 shown]
	v_add_f64 v[40:41], v[84:85], v[88:89]
	v_add_f64 v[44:45], v[84:85], v[210:211]
	;; [unrolled: 1-line block ×5, first 2 shown]
	v_add_f64 v[196:197], v[102:103], -v[142:143]
	v_add_f64 v[42:43], v[86:87], v[90:91]
	v_add_f64 v[206:207], v[108:109], v[136:137]
	v_add_f64 v[208:209], v[108:109], -v[136:137]
	v_add_f64 v[210:211], v[110:111], v[138:139]
	v_add_f64 v[46:47], v[86:87], v[234:235]
	;; [unrolled: 1-line block ×12, first 2 shown]
	v_add_f64 v[212:213], v[114:115], -v[134:135]
	v_add_f64 v[86:87], v[86:87], v[214:215]
	v_add_f64 v[214:215], v[112:113], v[132:133]
	v_add_f64 v[218:219], v[112:113], -v[132:133]
	v_add_f64 v[220:221], v[114:115], v[134:135]
	v_add_f64 v[224:225], v[118:119], -v[130:131]
	v_mul_f64 v[88:89], v[196:197], s[24:25]
	v_add_f64 v[226:227], v[116:117], v[128:129]
	v_add_f64 v[230:231], v[116:117], -v[128:129]
	v_mul_f64 v[106:107], v[208:209], s[30:31]
	v_add_f64 v[232:233], v[118:119], v[130:131]
	v_add_f64 v[40:41], v[40:41], v[100:101]
	;; [unrolled: 1-line block ×3, first 2 shown]
	v_mul_f64 v[216:217], v[212:213], s[20:21]
	v_mul_f64 v[222:223], v[218:219], s[20:21]
	;; [unrolled: 1-line block ×3, first 2 shown]
	v_fma_f64 v[90:91], v[198:199], s[6:7], -v[88:89]
	v_mul_f64 v[234:235], v[230:231], s[26:27]
	v_add_f64 v[40:41], v[40:41], v[108:109]
	v_add_f64 v[42:43], v[42:43], v[110:111]
	;; [unrolled: 1-line block ×3, first 2 shown]
	v_mul_f64 v[90:91], v[200:201], s[24:25]
	v_add_f64 v[40:41], v[40:41], v[112:113]
	v_add_f64 v[42:43], v[42:43], v[114:115]
	v_fma_f64 v[96:97], v[202:203], s[6:7], v[90:91]
	v_add_f64 v[40:41], v[40:41], v[116:117]
	v_add_f64 v[42:43], v[42:43], v[118:119]
	v_add_f64 v[46:47], v[96:97], v[46:47]
	v_fma_f64 v[96:97], v[206:207], s[16:17], -v[104:105]
	v_add_f64 v[40:41], v[40:41], v[120:121]
	v_add_f64 v[42:43], v[42:43], v[122:123]
	v_add_f64 v[44:45], v[96:97], v[44:45]
	v_fma_f64 v[96:97], v[210:211], s[16:17], v[106:107]
	v_add_f64 v[40:41], v[40:41], v[124:125]
	v_add_f64 v[42:43], v[42:43], v[126:127]
	v_add_f64 v[46:47], v[96:97], v[46:47]
	v_fma_f64 v[96:97], v[214:215], s[18:19], -v[216:217]
	v_add_f64 v[40:41], v[40:41], v[128:129]
	;; [unrolled: 8-line block ×4, first 2 shown]
	v_add_f64 v[110:111], v[42:43], v[146:147]
	v_add_f64 v[96:97], v[96:97], v[44:45]
	v_add_f64 v[44:45], v[120:121], -v[124:125]
	v_mul_f64 v[236:237], v[44:45], s[34:35]
	v_fma_f64 v[98:99], v[250:251], s[28:29], v[236:237]
	v_add_f64 v[98:99], v[98:99], v[46:47]
	v_fma_f64 v[46:47], v[198:199], s[6:7], v[88:89]
	v_add_f64 v[46:47], v[46:47], v[48:49]
	v_fma_f64 v[48:49], v[202:203], s[6:7], -v[90:91]
	v_fma_f64 v[90:91], v[250:251], s[28:29], -v[236:237]
	v_mul_f64 v[236:237], v[230:231], s[38:39]
	v_add_f64 v[48:49], v[48:49], v[50:51]
	v_fma_f64 v[50:51], v[206:207], s[16:17], v[104:105]
	v_add_f64 v[46:47], v[50:51], v[46:47]
	v_fma_f64 v[50:51], v[210:211], s[16:17], -v[106:107]
	v_add_f64 v[48:49], v[50:51], v[48:49]
	v_fma_f64 v[50:51], v[214:215], s[18:19], v[216:217]
	v_mul_f64 v[216:217], v[208:209], s[34:35]
	v_add_f64 v[46:47], v[50:51], v[46:47]
	v_fma_f64 v[50:51], v[220:221], s[18:19], -v[222:223]
	v_mul_f64 v[222:223], v[212:213], s[44:45]
	v_add_f64 v[48:49], v[50:51], v[48:49]
	v_fma_f64 v[50:51], v[226:227], s[22:23], v[228:229]
	v_mul_f64 v[228:229], v[218:219], s[44:45]
	v_add_f64 v[46:47], v[50:51], v[46:47]
	v_fma_f64 v[50:51], v[232:233], s[22:23], -v[234:235]
	v_mul_f64 v[234:235], v[224:225], s[38:39]
	v_add_f64 v[48:49], v[50:51], v[48:49]
	v_fma_f64 v[50:51], v[246:247], s[28:29], v[248:249]
	v_add_f64 v[90:91], v[90:91], v[48:49]
	v_add_f64 v[88:89], v[50:51], v[46:47]
	v_mul_f64 v[46:47], v[196:197], s[20:21]
	v_mul_f64 v[50:51], v[200:201], s[20:21]
	v_fma_f64 v[48:49], v[198:199], s[18:19], -v[46:47]
	v_fma_f64 v[40:41], v[198:199], s[18:19], v[46:47]
	v_add_f64 v[48:49], v[48:49], v[52:53]
	v_fma_f64 v[52:53], v[202:203], s[18:19], v[50:51]
	v_add_f64 v[38:39], v[40:41], v[38:39]
	v_fma_f64 v[40:41], v[202:203], s[18:19], -v[50:51]
	v_add_f64 v[52:53], v[52:53], v[54:55]
	v_mul_f64 v[54:55], v[204:205], s[34:35]
	v_add_f64 v[40:41], v[40:41], v[56:57]
	v_fma_f64 v[104:105], v[206:207], s[28:29], -v[54:55]
	v_fma_f64 v[42:43], v[206:207], s[28:29], v[54:55]
	v_add_f64 v[48:49], v[104:105], v[48:49]
	v_fma_f64 v[104:105], v[210:211], s[28:29], v[216:217]
	v_add_f64 v[38:39], v[42:43], v[38:39]
	v_fma_f64 v[42:43], v[210:211], s[28:29], -v[216:217]
	v_add_f64 v[216:217], v[148:149], v[152:153]
	v_add_f64 v[52:53], v[104:105], v[52:53]
	v_fma_f64 v[104:105], v[214:215], s[22:23], -v[222:223]
	v_add_f64 v[40:41], v[42:43], v[40:41]
	v_fma_f64 v[42:43], v[214:215], s[22:23], v[222:223]
	v_add_f64 v[48:49], v[104:105], v[48:49]
	v_fma_f64 v[104:105], v[220:221], s[22:23], v[228:229]
	v_add_f64 v[38:39], v[42:43], v[38:39]
	v_fma_f64 v[42:43], v[220:221], s[22:23], -v[228:229]
	v_add_f64 v[52:53], v[104:105], v[52:53]
	v_fma_f64 v[104:105], v[226:227], s[16:17], -v[234:235]
	v_add_f64 v[40:41], v[42:43], v[40:41]
	v_fma_f64 v[42:43], v[226:227], s[16:17], v[234:235]
	v_add_f64 v[48:49], v[104:105], v[48:49]
	v_fma_f64 v[104:105], v[232:233], s[16:17], v[236:237]
	v_add_f64 v[38:39], v[42:43], v[38:39]
	v_fma_f64 v[42:43], v[232:233], s[16:17], -v[236:237]
	v_add_f64 v[52:53], v[104:105], v[52:53]
	v_fma_f64 v[104:105], v[246:247], s[2:3], -v[238:239]
	v_add_f64 v[40:41], v[42:43], v[40:41]
	v_fma_f64 v[42:43], v[246:247], s[2:3], v[238:239]
	v_add_f64 v[104:105], v[104:105], v[48:49]
	v_mul_f64 v[48:49], v[44:45], s[40:41]
	v_add_f64 v[100:101], v[42:43], v[38:39]
	v_mul_f64 v[38:39], v[196:197], s[34:35]
	v_fma_f64 v[46:47], v[250:251], s[2:3], -v[48:49]
	v_fma_f64 v[106:107], v[250:251], s[2:3], v[48:49]
	v_add_f64 v[102:103], v[46:47], v[40:41]
	v_fma_f64 v[40:41], v[198:199], s[28:29], -v[38:39]
	v_mul_f64 v[46:47], v[204:205], s[48:49]
	v_add_f64 v[106:107], v[106:107], v[52:53]
	v_fma_f64 v[38:39], v[198:199], s[28:29], v[38:39]
	v_add_f64 v[36:37], v[40:41], v[36:37]
	v_mul_f64 v[40:41], v[200:201], s[34:35]
	v_fma_f64 v[48:49], v[206:207], s[18:19], -v[46:47]
	v_add_f64 v[38:39], v[38:39], v[60:61]
	v_fma_f64 v[42:43], v[202:203], s[28:29], v[40:41]
	v_add_f64 v[36:37], v[48:49], v[36:37]
	v_mul_f64 v[48:49], v[208:209], s[48:49]
	v_fma_f64 v[40:41], v[202:203], s[28:29], -v[40:41]
	v_add_f64 v[42:43], v[42:43], v[58:59]
	v_fma_f64 v[50:51], v[210:211], s[18:19], v[48:49]
	v_add_f64 v[40:41], v[40:41], v[62:63]
	v_add_f64 v[42:43], v[50:51], v[42:43]
	v_mul_f64 v[50:51], v[212:213], s[40:41]
	v_fma_f64 v[52:53], v[214:215], s[2:3], -v[50:51]
	v_add_f64 v[36:37], v[52:53], v[36:37]
	v_mul_f64 v[52:53], v[218:219], s[40:41]
	v_fma_f64 v[54:55], v[220:221], s[2:3], v[52:53]
	v_add_f64 v[42:43], v[54:55], v[42:43]
	v_mul_f64 v[54:55], v[224:225], s[24:25]
	v_fma_f64 v[56:57], v[226:227], s[6:7], -v[54:55]
	v_add_f64 v[36:37], v[56:57], v[36:37]
	v_mul_f64 v[56:57], v[230:231], s[24:25]
	v_fma_f64 v[58:59], v[232:233], s[6:7], v[56:57]
	;; [unrolled: 6-line block ×3, first 2 shown]
	v_fma_f64 v[36:37], v[250:251], s[22:23], -v[36:37]
	v_add_f64 v[118:119], v[112:113], v[42:43]
	v_fma_f64 v[42:43], v[206:207], s[18:19], v[46:47]
	v_mul_f64 v[46:47], v[204:205], s[40:41]
	v_add_f64 v[38:39], v[42:43], v[38:39]
	v_fma_f64 v[42:43], v[210:211], s[18:19], -v[48:49]
	v_fma_f64 v[48:49], v[206:207], s[2:3], -v[46:47]
	v_add_f64 v[40:41], v[42:43], v[40:41]
	v_fma_f64 v[42:43], v[214:215], s[2:3], v[50:51]
	v_add_f64 v[38:39], v[42:43], v[38:39]
	v_fma_f64 v[42:43], v[220:221], s[2:3], -v[52:53]
	v_add_f64 v[40:41], v[42:43], v[40:41]
	v_fma_f64 v[42:43], v[226:227], s[6:7], v[54:55]
	v_add_f64 v[38:39], v[42:43], v[38:39]
	;; [unrolled: 4-line block ×3, first 2 shown]
	v_mul_f64 v[36:37], v[196:197], s[44:45]
	v_add_f64 v[112:113], v[42:43], v[38:39]
	v_mul_f64 v[40:41], v[200:201], s[44:45]
	v_fma_f64 v[38:39], v[198:199], s[22:23], -v[36:37]
	v_fma_f64 v[36:37], v[198:199], s[22:23], v[36:37]
	v_fma_f64 v[42:43], v[202:203], s[22:23], v[40:41]
	v_fma_f64 v[40:41], v[202:203], s[22:23], -v[40:41]
	v_add_f64 v[38:39], v[38:39], v[64:65]
	v_add_f64 v[36:37], v[36:37], v[68:69]
	;; [unrolled: 1-line block ×5, first 2 shown]
	v_mul_f64 v[48:49], v[208:209], s[40:41]
	v_fma_f64 v[50:51], v[210:211], s[2:3], v[48:49]
	v_add_f64 v[42:43], v[50:51], v[42:43]
	v_mul_f64 v[50:51], v[212:213], s[30:31]
	v_fma_f64 v[52:53], v[214:215], s[16:17], -v[50:51]
	v_add_f64 v[38:39], v[52:53], v[38:39]
	v_mul_f64 v[52:53], v[218:219], s[30:31]
	v_fma_f64 v[54:55], v[220:221], s[16:17], v[52:53]
	v_add_f64 v[42:43], v[54:55], v[42:43]
	v_mul_f64 v[54:55], v[224:225], s[46:47]
	v_fma_f64 v[56:57], v[226:227], s[28:29], -v[54:55]
	v_add_f64 v[38:39], v[56:57], v[38:39]
	;; [unrolled: 6-line block ×3, first 2 shown]
	v_mul_f64 v[38:39], v[44:45], s[42:43]
	v_fma_f64 v[60:61], v[250:251], s[6:7], v[38:39]
	v_fma_f64 v[38:39], v[250:251], s[6:7], -v[38:39]
	v_add_f64 v[126:127], v[60:61], v[42:43]
	v_fma_f64 v[42:43], v[206:207], s[2:3], v[46:47]
	v_mul_f64 v[46:47], v[204:205], s[24:25]
	v_add_f64 v[36:37], v[42:43], v[36:37]
	v_fma_f64 v[42:43], v[210:211], s[2:3], -v[48:49]
	v_fma_f64 v[48:49], v[206:207], s[6:7], -v[46:47]
	v_add_f64 v[40:41], v[42:43], v[40:41]
	v_fma_f64 v[42:43], v[214:215], s[16:17], v[50:51]
	v_add_f64 v[36:37], v[42:43], v[36:37]
	v_fma_f64 v[42:43], v[220:221], s[16:17], -v[52:53]
	v_add_f64 v[40:41], v[42:43], v[40:41]
	v_fma_f64 v[42:43], v[226:227], s[28:29], v[54:55]
	v_add_f64 v[36:37], v[42:43], v[36:37]
	;; [unrolled: 4-line block ×3, first 2 shown]
	v_add_f64 v[120:121], v[42:43], v[36:37]
	v_mul_f64 v[36:37], v[196:197], s[38:39]
	v_mul_f64 v[40:41], v[200:201], s[38:39]
	v_fma_f64 v[38:39], v[198:199], s[16:17], -v[36:37]
	v_fma_f64 v[42:43], v[202:203], s[16:17], v[40:41]
	v_fma_f64 v[36:37], v[198:199], s[16:17], v[36:37]
	v_fma_f64 v[40:41], v[202:203], s[16:17], -v[40:41]
	v_add_f64 v[38:39], v[38:39], v[72:73]
	v_add_f64 v[42:43], v[42:43], v[74:75]
	v_add_f64 v[36:37], v[36:37], v[76:77]
	v_add_f64 v[40:41], v[40:41], v[78:79]
	v_add_f64 v[38:39], v[48:49], v[38:39]
	v_mul_f64 v[48:49], v[208:209], s[24:25]
	v_fma_f64 v[50:51], v[210:211], s[6:7], v[48:49]
	v_add_f64 v[42:43], v[50:51], v[42:43]
	v_mul_f64 v[50:51], v[212:213], s[46:47]
	v_fma_f64 v[52:53], v[214:215], s[28:29], -v[50:51]
	v_add_f64 v[38:39], v[52:53], v[38:39]
	v_mul_f64 v[52:53], v[218:219], s[46:47]
	v_fma_f64 v[54:55], v[220:221], s[28:29], v[52:53]
	v_add_f64 v[42:43], v[54:55], v[42:43]
	v_mul_f64 v[54:55], v[224:225], s[40:41]
	v_fma_f64 v[56:57], v[226:227], s[2:3], -v[54:55]
	v_add_f64 v[38:39], v[56:57], v[38:39]
	;; [unrolled: 6-line block ×3, first 2 shown]
	v_mul_f64 v[38:39], v[44:45], s[20:21]
	v_mul_f64 v[44:45], v[44:45], s[38:39]
	v_fma_f64 v[60:61], v[250:251], s[18:19], v[38:39]
	v_fma_f64 v[38:39], v[250:251], s[18:19], -v[38:39]
	v_add_f64 v[130:131], v[60:61], v[42:43]
	v_fma_f64 v[42:43], v[206:207], s[6:7], v[46:47]
	v_mul_f64 v[46:47], v[204:205], s[26:27]
	v_add_f64 v[204:205], v[158:159], -v[162:163]
	v_add_f64 v[36:37], v[42:43], v[36:37]
	v_fma_f64 v[42:43], v[210:211], s[6:7], -v[48:49]
	v_fma_f64 v[48:49], v[206:207], s[22:23], -v[46:47]
	v_add_f64 v[40:41], v[42:43], v[40:41]
	v_fma_f64 v[42:43], v[214:215], s[28:29], v[50:51]
	v_add_f64 v[36:37], v[42:43], v[36:37]
	v_fma_f64 v[42:43], v[220:221], s[28:29], -v[52:53]
	v_add_f64 v[40:41], v[42:43], v[40:41]
	v_fma_f64 v[42:43], v[226:227], s[2:3], v[54:55]
	v_add_f64 v[36:37], v[42:43], v[36:37]
	;; [unrolled: 4-line block ×3, first 2 shown]
	v_add_f64 v[132:133], v[42:43], v[36:37]
	v_mul_f64 v[36:37], v[196:197], s[40:41]
	v_mul_f64 v[40:41], v[200:201], s[40:41]
	v_add_f64 v[196:197], v[182:183], -v[186:187]
	v_fma_f64 v[38:39], v[198:199], s[2:3], -v[36:37]
	v_fma_f64 v[42:43], v[202:203], s[2:3], v[40:41]
	v_fma_f64 v[36:37], v[198:199], s[2:3], v[36:37]
	v_add_f64 v[38:39], v[38:39], v[80:81]
	v_add_f64 v[42:43], v[42:43], v[82:83]
	;; [unrolled: 1-line block ×4, first 2 shown]
	v_mul_f64 v[48:49], v[208:209], s[26:27]
	v_add_f64 v[208:209], v[156:157], v[160:161]
	v_fma_f64 v[50:51], v[210:211], s[22:23], v[48:49]
	v_add_f64 v[42:43], v[50:51], v[42:43]
	v_mul_f64 v[50:51], v[212:213], s[42:43]
	v_add_f64 v[212:213], v[150:151], -v[154:155]
	v_fma_f64 v[52:53], v[214:215], s[6:7], -v[50:51]
	v_add_f64 v[38:39], v[52:53], v[38:39]
	v_mul_f64 v[52:53], v[218:219], s[42:43]
	v_add_f64 v[218:219], v[148:149], -v[152:153]
	v_fma_f64 v[54:55], v[220:221], s[6:7], v[52:53]
	v_add_f64 v[42:43], v[54:55], v[42:43]
	v_mul_f64 v[54:55], v[224:225], s[20:21]
	v_fma_f64 v[56:57], v[226:227], s[18:19], -v[54:55]
	v_add_f64 v[38:39], v[56:57], v[38:39]
	v_mul_f64 v[56:57], v[230:231], s[20:21]
	v_fma_f64 v[58:59], v[232:233], s[18:19], v[56:57]
	v_add_f64 v[42:43], v[58:59], v[42:43]
	v_mul_f64 v[58:59], v[244:245], s[38:39]
	v_fma_f64 v[60:61], v[246:247], s[16:17], -v[58:59]
	v_add_f64 v[136:137], v[60:61], v[38:39]
	v_fma_f64 v[38:39], v[250:251], s[16:17], v[44:45]
	v_add_f64 v[138:139], v[38:39], v[42:43]
	v_fma_f64 v[38:39], v[202:203], s[2:3], -v[40:41]
	v_fma_f64 v[40:41], v[206:207], s[22:23], v[46:47]
	v_fma_f64 v[42:43], v[210:211], s[22:23], -v[48:49]
	v_add_f64 v[202:203], v[164:165], -v[168:169]
	v_add_f64 v[210:211], v[156:157], -v[160:161]
	v_add_f64 v[206:207], v[158:159], v[162:163]
	v_add_f64 v[38:39], v[38:39], v[86:87]
	;; [unrolled: 1-line block ×3, first 2 shown]
	v_fma_f64 v[40:41], v[214:215], s[6:7], v[50:51]
	v_add_f64 v[214:215], v[150:151], v[154:155]
	v_add_f64 v[38:39], v[42:43], v[38:39]
	v_fma_f64 v[42:43], v[220:221], s[6:7], -v[52:53]
	v_add_f64 v[36:37], v[40:41], v[36:37]
	v_fma_f64 v[40:41], v[226:227], s[18:19], v[54:55]
	v_add_f64 v[38:39], v[42:43], v[38:39]
	v_fma_f64 v[42:43], v[232:233], s[18:19], -v[56:57]
	v_add_f64 v[36:37], v[40:41], v[36:37]
	v_fma_f64 v[40:41], v[246:247], s[16:17], v[58:59]
	v_add_f64 v[38:39], v[42:43], v[38:39]
	v_fma_f64 v[42:43], v[250:251], s[16:17], -v[44:45]
	v_add_f64 v[144:145], v[40:41], v[36:37]
	v_add_f64 v[36:37], v[92:93], v[188:189]
	;; [unrolled: 1-line block ×6, first 2 shown]
	v_add_f64 v[42:43], v[188:189], -v[192:193]
	v_add_f64 v[38:39], v[38:39], v[182:183]
	v_add_f64 v[36:37], v[36:37], v[172:173]
	v_mul_f64 v[66:67], v[42:43], s[24:25]
	v_mul_f64 v[68:69], v[42:43], s[30:31]
	v_mul_f64 v[70:71], v[42:43], s[20:21]
	v_mul_f64 v[72:73], v[42:43], s[26:27]
	v_add_f64 v[182:183], v[182:183], v[186:187]
	v_add_f64 v[38:39], v[38:39], v[174:175]
	;; [unrolled: 1-line block ×7, first 2 shown]
	v_mul_f64 v[148:149], v[212:213], s[34:35]
	v_add_f64 v[38:39], v[38:39], v[150:151]
	v_add_f64 v[36:37], v[36:37], v[152:153]
	v_fma_f64 v[150:151], v[216:217], s[28:29], -v[148:149]
	v_add_f64 v[38:39], v[38:39], v[154:155]
	v_add_f64 v[36:37], v[36:37], v[160:161]
	;; [unrolled: 1-line block ×10, first 2 shown]
	v_add_f64 v[36:37], v[190:191], -v[194:195]
	v_add_f64 v[186:187], v[180:181], v[184:185]
	v_add_f64 v[180:181], v[180:181], -v[184:185]
	v_add_f64 v[184:185], v[164:165], v[168:169]
	v_add_f64 v[142:143], v[38:39], v[194:195]
	;; [unrolled: 1-line block ×3, first 2 shown]
	v_mul_f64 v[52:53], v[36:37], s[26:27]
	v_mul_f64 v[44:45], v[36:37], s[36:37]
	;; [unrolled: 1-line block ×6, first 2 shown]
	v_fma_f64 v[76:77], v[38:39], s[6:7], v[66:67]
	v_fma_f64 v[62:63], v[40:41], s[22:23], -v[52:53]
	v_fma_f64 v[52:53], v[40:41], s[22:23], v[52:53]
	v_fma_f64 v[54:55], v[40:41], s[2:3], -v[44:45]
	;; [unrolled: 2-line block ×6, first 2 shown]
	v_fma_f64 v[36:37], v[40:41], s[28:29], v[36:37]
	v_mul_f64 v[40:41], v[42:43], s[36:37]
	v_mul_f64 v[42:43], v[42:43], s[34:35]
	v_fma_f64 v[66:67], v[38:39], s[6:7], -v[66:67]
	v_fma_f64 v[78:79], v[38:39], s[16:17], v[68:69]
	v_fma_f64 v[68:69], v[38:39], s[16:17], -v[68:69]
	v_fma_f64 v[80:81], v[38:39], s[18:19], v[70:71]
	;; [unrolled: 2-line block ×3, first 2 shown]
	v_fma_f64 v[72:73], v[38:39], s[22:23], -v[72:73]
	v_add_f64 v[62:63], v[92:93], v[62:63]
	v_add_f64 v[200:201], v[92:93], v[52:53]
	v_mul_f64 v[52:53], v[196:197], s[24:25]
	v_add_f64 v[44:45], v[92:93], v[44:45]
	v_add_f64 v[56:57], v[92:93], v[56:57]
	;; [unrolled: 1-line block ×9, first 2 shown]
	v_fma_f64 v[74:75], v[38:39], s[2:3], v[40:41]
	v_fma_f64 v[40:41], v[38:39], s[2:3], -v[40:41]
	v_fma_f64 v[84:85], v[38:39], s[28:29], v[42:43]
	v_fma_f64 v[38:39], v[38:39], s[28:29], -v[42:43]
	v_add_f64 v[42:43], v[92:93], v[54:55]
	v_add_f64 v[64:65], v[172:173], -v[176:177]
	v_add_f64 v[66:67], v[94:95], v[66:67]
	v_add_f64 v[68:69], v[94:95], v[68:69]
	;; [unrolled: 1-line block ×4, first 2 shown]
	v_fma_f64 v[36:37], v[186:187], s[6:7], -v[52:53]
	v_fma_f64 v[52:53], v[186:187], s[6:7], v[52:53]
	v_add_f64 v[54:55], v[94:95], v[74:75]
	v_add_f64 v[74:75], v[94:95], v[76:77]
	;; [unrolled: 1-line block ×9, first 2 shown]
	v_mul_f64 v[42:43], v[180:181], s[24:25]
	v_add_f64 v[44:45], v[52:53], v[44:45]
	v_fma_f64 v[38:39], v[182:183], s[6:7], v[42:43]
	v_fma_f64 v[42:43], v[182:183], s[6:7], -v[42:43]
	v_add_f64 v[38:39], v[38:39], v[54:55]
	v_add_f64 v[54:55], v[174:175], -v[178:179]
	v_add_f64 v[174:175], v[174:175], v[178:179]
	v_add_f64 v[178:179], v[172:173], v[176:177]
	v_add_f64 v[172:173], v[166:167], -v[170:171]
	v_add_f64 v[176:177], v[166:167], v[170:171]
	v_add_f64 v[40:41], v[42:43], v[40:41]
	v_mul_f64 v[72:73], v[54:55], s[30:31]
	v_fma_f64 v[82:83], v[178:179], s[16:17], -v[72:73]
	v_fma_f64 v[42:43], v[178:179], s[16:17], v[72:73]
	v_add_f64 v[36:37], v[82:83], v[36:37]
	v_mul_f64 v[82:83], v[64:65], s[30:31]
	v_add_f64 v[42:43], v[42:43], v[44:45]
	v_fma_f64 v[84:85], v[174:175], s[16:17], v[82:83]
	v_fma_f64 v[44:45], v[174:175], s[16:17], -v[82:83]
	v_add_f64 v[38:39], v[84:85], v[38:39]
	v_mul_f64 v[84:85], v[172:173], s[20:21]
	v_add_f64 v[40:41], v[44:45], v[40:41]
	v_fma_f64 v[86:87], v[184:185], s[18:19], -v[84:85]
	v_fma_f64 v[44:45], v[184:185], s[18:19], v[84:85]
	v_add_f64 v[36:37], v[86:87], v[36:37]
	v_mul_f64 v[86:87], v[202:203], s[20:21]
	v_add_f64 v[42:43], v[44:45], v[42:43]
	v_fma_f64 v[92:93], v[176:177], s[18:19], v[86:87]
	v_fma_f64 v[44:45], v[176:177], s[18:19], -v[86:87]
	v_add_f64 v[38:39], v[92:93], v[38:39]
	v_mul_f64 v[92:93], v[204:205], s[26:27]
	v_add_f64 v[40:41], v[44:45], v[40:41]
	v_fma_f64 v[94:95], v[208:209], s[22:23], -v[92:93]
	v_fma_f64 v[44:45], v[208:209], s[22:23], v[92:93]
	v_add_f64 v[36:37], v[94:95], v[36:37]
	v_mul_f64 v[94:95], v[210:211], s[26:27]
	v_add_f64 v[42:43], v[44:45], v[42:43]
	v_add_f64 v[36:37], v[150:151], v[36:37]
	v_mul_f64 v[150:151], v[218:219], s[34:35]
	v_fma_f64 v[44:45], v[206:207], s[22:23], -v[94:95]
	v_fma_f64 v[156:157], v[206:207], s[22:23], v[94:95]
	v_fma_f64 v[52:53], v[214:215], s[28:29], -v[150:151]
	v_add_f64 v[40:41], v[44:45], v[40:41]
	v_fma_f64 v[44:45], v[216:217], s[28:29], v[148:149]
	v_add_f64 v[38:39], v[156:157], v[38:39]
	v_fma_f64 v[152:153], v[214:215], s[28:29], v[150:151]
	v_add_f64 v[94:95], v[52:53], v[40:41]
	v_mul_f64 v[40:41], v[196:197], s[20:21]
	v_add_f64 v[92:93], v[44:45], v[42:43]
	v_mul_f64 v[44:45], v[180:181], s[20:21]
	;; [unrolled: 2-line block ×3, first 2 shown]
	v_fma_f64 v[42:43], v[186:187], s[18:19], -v[40:41]
	v_fma_f64 v[40:41], v[186:187], s[18:19], v[40:41]
	v_fma_f64 v[52:53], v[182:183], s[18:19], v[44:45]
	v_fma_f64 v[44:45], v[182:183], s[18:19], -v[44:45]
	v_add_f64 v[42:43], v[42:43], v[56:57]
	v_mul_f64 v[56:57], v[54:55], s[34:35]
	v_add_f64 v[52:53], v[52:53], v[74:75]
	v_add_f64 v[40:41], v[40:41], v[46:47]
	;; [unrolled: 1-line block ×3, first 2 shown]
	v_fma_f64 v[72:73], v[178:179], s[28:29], -v[56:57]
	v_fma_f64 v[46:47], v[178:179], s[28:29], v[56:57]
	v_add_f64 v[42:43], v[72:73], v[42:43]
	v_mul_f64 v[72:73], v[64:65], s[34:35]
	v_add_f64 v[40:41], v[46:47], v[40:41]
	v_fma_f64 v[74:75], v[174:175], s[28:29], v[72:73]
	v_fma_f64 v[46:47], v[174:175], s[28:29], -v[72:73]
	v_add_f64 v[52:53], v[74:75], v[52:53]
	v_mul_f64 v[74:75], v[172:173], s[44:45]
	v_add_f64 v[44:45], v[46:47], v[44:45]
	v_fma_f64 v[82:83], v[184:185], s[22:23], -v[74:75]
	v_fma_f64 v[46:47], v[184:185], s[22:23], v[74:75]
	v_add_f64 v[42:43], v[82:83], v[42:43]
	v_mul_f64 v[82:83], v[202:203], s[44:45]
	v_add_f64 v[40:41], v[46:47], v[40:41]
	v_fma_f64 v[84:85], v[176:177], s[22:23], v[82:83]
	v_fma_f64 v[46:47], v[176:177], s[22:23], -v[82:83]
	v_add_f64 v[52:53], v[84:85], v[52:53]
	v_mul_f64 v[84:85], v[204:205], s[38:39]
	v_add_f64 v[44:45], v[46:47], v[44:45]
	v_fma_f64 v[86:87], v[208:209], s[16:17], -v[84:85]
	v_fma_f64 v[46:47], v[208:209], s[16:17], v[84:85]
	v_add_f64 v[42:43], v[86:87], v[42:43]
	v_mul_f64 v[86:87], v[210:211], s[38:39]
	v_add_f64 v[40:41], v[46:47], v[40:41]
	v_fma_f64 v[148:149], v[206:207], s[16:17], v[86:87]
	v_fma_f64 v[46:47], v[206:207], s[16:17], -v[86:87]
	v_add_f64 v[52:53], v[148:149], v[52:53]
	v_fma_f64 v[148:149], v[216:217], s[2:3], -v[152:153]
	v_add_f64 v[44:45], v[46:47], v[44:45]
	v_fma_f64 v[46:47], v[216:217], s[2:3], v[152:153]
	v_add_f64 v[148:149], v[148:149], v[42:43]
	v_mul_f64 v[42:43], v[218:219], s[40:41]
	v_add_f64 v[84:85], v[46:47], v[40:41]
	v_mul_f64 v[40:41], v[196:197], s[34:35]
	v_fma_f64 v[150:151], v[214:215], s[2:3], v[42:43]
	v_fma_f64 v[42:43], v[214:215], s[2:3], -v[42:43]
	v_add_f64 v[150:151], v[150:151], v[52:53]
	v_add_f64 v[86:87], v[42:43], v[44:45]
	v_fma_f64 v[42:43], v[186:187], s[28:29], -v[40:41]
	v_mul_f64 v[52:53], v[54:55], s[48:49]
	v_mul_f64 v[44:45], v[180:181], s[34:35]
	v_fma_f64 v[40:41], v[186:187], s[28:29], v[40:41]
	v_add_f64 v[42:43], v[42:43], v[58:59]
	v_fma_f64 v[56:57], v[178:179], s[18:19], -v[52:53]
	v_fma_f64 v[46:47], v[182:183], s[28:29], v[44:45]
	v_add_f64 v[40:41], v[40:41], v[48:49]
	v_fma_f64 v[44:45], v[182:183], s[28:29], -v[44:45]
	v_mul_f64 v[48:49], v[54:55], s[40:41]
	v_add_f64 v[42:43], v[56:57], v[42:43]
	v_mul_f64 v[56:57], v[64:65], s[48:49]
	v_add_f64 v[46:47], v[46:47], v[76:77]
	v_add_f64 v[44:45], v[44:45], v[68:69]
	v_fma_f64 v[58:59], v[174:175], s[18:19], v[56:57]
	v_add_f64 v[46:47], v[58:59], v[46:47]
	v_mul_f64 v[58:59], v[172:173], s[40:41]
	v_fma_f64 v[66:67], v[184:185], s[2:3], -v[58:59]
	v_add_f64 v[42:43], v[66:67], v[42:43]
	v_mul_f64 v[66:67], v[202:203], s[40:41]
	v_fma_f64 v[72:73], v[176:177], s[2:3], v[66:67]
	v_add_f64 v[46:47], v[72:73], v[46:47]
	v_mul_f64 v[72:73], v[204:205], s[24:25]
	v_fma_f64 v[74:75], v[208:209], s[6:7], -v[72:73]
	v_add_f64 v[42:43], v[74:75], v[42:43]
	v_mul_f64 v[74:75], v[210:211], s[24:25]
	;; [unrolled: 6-line block ×3, first 2 shown]
	v_fma_f64 v[82:83], v[214:215], s[22:23], v[42:43]
	v_fma_f64 v[42:43], v[214:215], s[22:23], -v[42:43]
	v_add_f64 v[154:155], v[82:83], v[46:47]
	v_fma_f64 v[46:47], v[178:179], s[18:19], v[52:53]
	v_fma_f64 v[52:53], v[178:179], s[2:3], -v[48:49]
	v_add_f64 v[40:41], v[46:47], v[40:41]
	v_fma_f64 v[46:47], v[174:175], s[18:19], -v[56:57]
	v_add_f64 v[44:45], v[46:47], v[44:45]
	v_fma_f64 v[46:47], v[184:185], s[2:3], v[58:59]
	v_add_f64 v[40:41], v[46:47], v[40:41]
	v_fma_f64 v[46:47], v[176:177], s[2:3], -v[66:67]
	v_add_f64 v[44:45], v[46:47], v[44:45]
	v_fma_f64 v[46:47], v[208:209], s[6:7], v[72:73]
	v_add_f64 v[40:41], v[46:47], v[40:41]
	v_fma_f64 v[46:47], v[206:207], s[6:7], -v[74:75]
	v_add_f64 v[44:45], v[46:47], v[44:45]
	v_fma_f64 v[46:47], v[216:217], s[22:23], v[76:77]
	v_add_f64 v[158:159], v[42:43], v[44:45]
	v_add_f64 v[156:157], v[46:47], v[40:41]
	v_mul_f64 v[40:41], v[196:197], s[44:45]
	v_mul_f64 v[44:45], v[180:181], s[44:45]
	v_fma_f64 v[42:43], v[186:187], s[22:23], -v[40:41]
	v_fma_f64 v[46:47], v[182:183], s[22:23], v[44:45]
	v_fma_f64 v[40:41], v[186:187], s[22:23], v[40:41]
	v_fma_f64 v[44:45], v[182:183], s[22:23], -v[44:45]
	v_add_f64 v[42:43], v[42:43], v[60:61]
	v_add_f64 v[46:47], v[46:47], v[78:79]
	;; [unrolled: 1-line block ×5, first 2 shown]
	v_mul_f64 v[52:53], v[64:65], s[40:41]
	v_fma_f64 v[56:57], v[174:175], s[2:3], v[52:53]
	v_add_f64 v[46:47], v[56:57], v[46:47]
	v_mul_f64 v[56:57], v[172:173], s[30:31]
	v_fma_f64 v[58:59], v[184:185], s[16:17], -v[56:57]
	v_add_f64 v[42:43], v[58:59], v[42:43]
	v_mul_f64 v[58:59], v[202:203], s[30:31]
	v_fma_f64 v[60:61], v[176:177], s[16:17], v[58:59]
	v_add_f64 v[46:47], v[60:61], v[46:47]
	v_mul_f64 v[60:61], v[204:205], s[46:47]
	v_fma_f64 v[66:67], v[208:209], s[28:29], -v[60:61]
	v_add_f64 v[42:43], v[66:67], v[42:43]
	v_mul_f64 v[66:67], v[210:211], s[46:47]
	v_fma_f64 v[68:69], v[206:207], s[28:29], v[66:67]
	v_add_f64 v[46:47], v[68:69], v[46:47]
	v_mul_f64 v[68:69], v[212:213], s[42:43]
	v_fma_f64 v[72:73], v[216:217], s[6:7], -v[68:69]
	v_add_f64 v[160:161], v[72:73], v[42:43]
	v_mul_f64 v[42:43], v[218:219], s[42:43]
	v_fma_f64 v[72:73], v[214:215], s[6:7], v[42:43]
	v_fma_f64 v[42:43], v[214:215], s[6:7], -v[42:43]
	v_add_f64 v[162:163], v[72:73], v[46:47]
	v_fma_f64 v[46:47], v[178:179], s[2:3], v[48:49]
	v_mul_f64 v[48:49], v[54:55], s[24:25]
	v_add_f64 v[40:41], v[46:47], v[40:41]
	v_fma_f64 v[46:47], v[174:175], s[2:3], -v[52:53]
	v_fma_f64 v[50:51], v[178:179], s[6:7], -v[48:49]
	v_add_f64 v[44:45], v[46:47], v[44:45]
	v_fma_f64 v[46:47], v[184:185], s[16:17], v[56:57]
	v_add_f64 v[40:41], v[46:47], v[40:41]
	v_fma_f64 v[46:47], v[176:177], s[16:17], -v[58:59]
	v_add_f64 v[44:45], v[46:47], v[44:45]
	v_fma_f64 v[46:47], v[208:209], s[28:29], v[60:61]
	v_add_f64 v[40:41], v[46:47], v[40:41]
	;; [unrolled: 4-line block ×3, first 2 shown]
	v_add_f64 v[164:165], v[46:47], v[40:41]
	v_mul_f64 v[40:41], v[196:197], s[38:39]
	v_mul_f64 v[44:45], v[180:181], s[38:39]
	v_fma_f64 v[42:43], v[186:187], s[16:17], -v[40:41]
	v_fma_f64 v[46:47], v[182:183], s[16:17], v[44:45]
	v_fma_f64 v[40:41], v[186:187], s[16:17], v[40:41]
	v_fma_f64 v[44:45], v[182:183], s[16:17], -v[44:45]
	v_add_f64 v[42:43], v[42:43], v[62:63]
	v_add_f64 v[46:47], v[46:47], v[80:81]
	;; [unrolled: 1-line block ×5, first 2 shown]
	v_mul_f64 v[50:51], v[64:65], s[24:25]
	v_fma_f64 v[52:53], v[174:175], s[6:7], v[50:51]
	v_add_f64 v[46:47], v[52:53], v[46:47]
	v_mul_f64 v[52:53], v[172:173], s[46:47]
	v_fma_f64 v[56:57], v[184:185], s[28:29], -v[52:53]
	v_add_f64 v[42:43], v[56:57], v[42:43]
	v_mul_f64 v[56:57], v[202:203], s[46:47]
	v_fma_f64 v[58:59], v[176:177], s[28:29], v[56:57]
	v_add_f64 v[46:47], v[58:59], v[46:47]
	v_mul_f64 v[58:59], v[204:205], s[40:41]
	v_fma_f64 v[60:61], v[208:209], s[2:3], -v[58:59]
	v_add_f64 v[42:43], v[60:61], v[42:43]
	;; [unrolled: 6-line block ×3, first 2 shown]
	v_mul_f64 v[42:43], v[218:219], s[20:21]
	v_fma_f64 v[66:67], v[214:215], s[18:19], v[42:43]
	v_fma_f64 v[42:43], v[214:215], s[18:19], -v[42:43]
	v_add_f64 v[170:171], v[66:67], v[46:47]
	v_fma_f64 v[46:47], v[178:179], s[6:7], v[48:49]
	v_mul_f64 v[48:49], v[54:55], s[26:27]
	v_add_f64 v[40:41], v[46:47], v[40:41]
	v_fma_f64 v[46:47], v[174:175], s[6:7], -v[50:51]
	v_fma_f64 v[50:51], v[178:179], s[22:23], -v[48:49]
	v_add_f64 v[44:45], v[46:47], v[44:45]
	v_fma_f64 v[46:47], v[184:185], s[28:29], v[52:53]
	v_add_f64 v[40:41], v[46:47], v[40:41]
	v_fma_f64 v[46:47], v[176:177], s[28:29], -v[56:57]
	v_add_f64 v[44:45], v[46:47], v[44:45]
	v_fma_f64 v[46:47], v[208:209], s[2:3], v[58:59]
	v_add_f64 v[40:41], v[46:47], v[40:41]
	v_fma_f64 v[46:47], v[206:207], s[2:3], -v[60:61]
	v_add_f64 v[44:45], v[46:47], v[44:45]
	v_fma_f64 v[46:47], v[216:217], s[18:19], v[62:63]
	v_mul_f64 v[62:63], v[218:219], s[38:39]
	v_add_f64 v[200:201], v[42:43], v[44:45]
	v_add_f64 v[198:199], v[46:47], v[40:41]
	v_mul_f64 v[40:41], v[196:197], s[40:41]
	v_mul_f64 v[44:45], v[180:181], s[40:41]
	v_fma_f64 v[42:43], v[186:187], s[2:3], -v[40:41]
	v_fma_f64 v[46:47], v[182:183], s[2:3], v[44:45]
	v_fma_f64 v[40:41], v[186:187], s[2:3], v[40:41]
	v_add_f64 v[42:43], v[42:43], v[194:195]
	v_add_f64 v[46:47], v[46:47], v[192:193]
	;; [unrolled: 1-line block ×4, first 2 shown]
	v_mul_f64 v[50:51], v[64:65], s[26:27]
	v_fma_f64 v[52:53], v[174:175], s[22:23], v[50:51]
	v_add_f64 v[46:47], v[52:53], v[46:47]
	v_mul_f64 v[52:53], v[172:173], s[42:43]
	v_fma_f64 v[54:55], v[184:185], s[6:7], -v[52:53]
	v_add_f64 v[42:43], v[54:55], v[42:43]
	v_mul_f64 v[54:55], v[202:203], s[42:43]
	v_fma_f64 v[56:57], v[176:177], s[6:7], v[54:55]
	v_add_f64 v[46:47], v[56:57], v[46:47]
	v_mul_f64 v[56:57], v[204:205], s[20:21]
	v_fma_f64 v[58:59], v[208:209], s[18:19], -v[56:57]
	v_add_f64 v[42:43], v[58:59], v[42:43]
	v_mul_f64 v[58:59], v[210:211], s[20:21]
	v_fma_f64 v[60:61], v[206:207], s[18:19], v[58:59]
	v_add_f64 v[46:47], v[60:61], v[46:47]
	v_mul_f64 v[60:61], v[212:213], s[38:39]
	v_fma_f64 v[64:65], v[216:217], s[16:17], -v[60:61]
	v_add_f64 v[192:193], v[64:65], v[42:43]
	v_fma_f64 v[42:43], v[214:215], s[16:17], v[62:63]
	v_add_f64 v[194:195], v[42:43], v[46:47]
	v_fma_f64 v[42:43], v[182:183], s[2:3], -v[44:45]
	v_fma_f64 v[44:45], v[178:179], s[22:23], v[48:49]
	v_fma_f64 v[46:47], v[174:175], s[22:23], -v[50:51]
	s_load_dwordx2 s[2:3], s[4:5], 0x38
	v_add_f64 v[42:43], v[42:43], v[190:191]
	v_add_f64 v[40:41], v[44:45], v[40:41]
	v_fma_f64 v[44:45], v[184:185], s[6:7], v[52:53]
	v_add_f64 v[42:43], v[46:47], v[42:43]
	v_fma_f64 v[46:47], v[176:177], s[6:7], -v[54:55]
	v_add_f64 v[40:41], v[44:45], v[40:41]
	v_fma_f64 v[44:45], v[208:209], s[18:19], v[56:57]
	v_add_f64 v[42:43], v[46:47], v[42:43]
	v_fma_f64 v[46:47], v[206:207], s[18:19], -v[58:59]
	;; [unrolled: 4-line block ×3, first 2 shown]
	v_add_f64 v[172:173], v[44:45], v[40:41]
	v_cndmask_b32_e64 v40, 0, 0x152, s0
	v_add_lshl_u32 v210, v242, v40, 4
	v_mov_b32_e32 v40, 0x152
	ds_write_b128 v210, v[108:111]
	ds_write_b128 v210, v[96:99] offset:416
	ds_write_b128 v210, v[104:107] offset:832
	;; [unrolled: 1-line block ×12, first 2 shown]
	v_mul_u32_u24_sdwa v40, v253, v40 dst_sel:DWORD dst_unused:UNUSED_PAD src0_sel:WORD_0 src1_sel:DWORD
	v_add_lshl_u32 v211, v40, v255, 4
	v_add_f64 v[174:175], v[46:47], v[42:43]
	ds_write_b128 v211, v[140:143]
	ds_write_b128 v211, v[36:39] offset:416
	ds_write_b128 v211, v[148:151] offset:832
	;; [unrolled: 1-line block ×12, first 2 shown]
	s_waitcnt lgkmcnt(0)
	s_barrier
	buffer_gl0_inv
	ds_read_b128 v[112:115], v252
	ds_read_b128 v[108:111], v252 offset:832
	ds_read_b128 v[184:187], v252 offset:5408
	;; [unrolled: 1-line block ×23, first 2 shown]
	s_and_saveexec_b32 s1, s0
	s_xor_b32 s0, exec_lo, s1
; %bb.2:
                                        ; implicit-def: $vgpr36
                                        ; kill: killed $vgpr36
; %bb.3:
	s_or_saveexec_b32 s0, s0
                                        ; implicit-def: $vgpr192_vgpr193
                                        ; implicit-def: $vgpr188_vgpr189
	s_xor_b32 exec_lo, exec_lo, s0
	s_cbranch_execz .LBB0_5
; %bb.4:
	ds_read_b128 v[84:87], v252 offset:4992
	ds_read_b128 v[92:95], v252 offset:10400
	;; [unrolled: 1-line block ×4, first 2 shown]
	buffer_load_dword v240, off, s[52:55], 0 offset:468 ; 4-byte Folded Reload
.LBB0_5:
	s_or_b32 exec_lo, exec_lo, s0
	buffer_load_dword v253, off, s[52:55], 0 offset:28 ; 4-byte Folded Reload
	v_add_nc_u32_e32 v255, 0xd00, v254
	v_add_nc_u32_e32 v242, 0x1a00, v254
	;; [unrolled: 1-line block ×5, first 2 shown]
	s_waitcnt vmcnt(0)
	v_mad_u64_u32 v[200:201], null, v253, 48, s[14:15]
	v_add_co_u32 v36, s0, 0x1000, v200
	v_add_co_ci_u32_e64 v37, s0, 0, v201, s0
	global_load_dwordx4 v[248:251], v[36:37], off offset:1280
	v_add_co_u32 v36, s0, 0x1ec0, v200
	v_add_co_ci_u32_e64 v37, s0, 0, v201, s0
	global_load_dwordx4 v[48:51], v[36:37], off offset:16
	s_waitcnt vmcnt(1) lgkmcnt(21)
	v_mul_f64 v[38:39], v[186:187], v[250:251]
	v_fma_f64 v[196:197], v[184:185], v[248:249], -v[38:39]
	v_mul_f64 v[38:39], v[184:185], v[250:251]
	v_fma_f64 v[198:199], v[186:187], v[248:249], v[38:39]
	v_add_co_u32 v38, s0, 0x1500, v200
	v_add_co_ci_u32_e64 v39, s0, 0, v201, s0
	v_add_co_u32 v46, s0, 0x1800, v200
	s_clause 0x1
	global_load_dwordx4 v[42:45], v[38:39], off offset:16
	global_load_dwordx4 v[52:55], v[38:39], off offset:32
	v_add_co_ci_u32_e64 v47, s0, 0, v201, s0
	s_waitcnt vmcnt(1) lgkmcnt(19)
	v_mul_f64 v[38:39], v[138:139], v[44:45]
	v_mul_f64 v[40:41], v[136:137], v[44:45]
	v_fma_f64 v[38:39], v[136:137], v[42:43], -v[38:39]
	buffer_store_dword v42, off, s[52:55], 0 offset:484 ; 4-byte Folded Spill
	buffer_store_dword v43, off, s[52:55], 0 offset:488 ; 4-byte Folded Spill
	buffer_store_dword v44, off, s[52:55], 0 offset:492 ; 4-byte Folded Spill
	buffer_store_dword v45, off, s[52:55], 0 offset:496 ; 4-byte Folded Spill
	s_waitcnt vmcnt(0) lgkmcnt(17)
	v_mul_f64 v[44:45], v[132:133], v[54:55]
	v_fma_f64 v[40:41], v[138:139], v[42:43], v[40:41]
	v_mul_f64 v[42:43], v[134:135], v[54:55]
	v_add_f64 v[40:41], v[114:115], -v[40:41]
	v_fma_f64 v[42:43], v[132:133], v[52:53], -v[42:43]
	buffer_store_dword v52, off, s[52:55], 0 offset:468 ; 4-byte Folded Spill
	buffer_store_dword v53, off, s[52:55], 0 offset:472 ; 4-byte Folded Spill
	;; [unrolled: 1-line block ×4, first 2 shown]
	v_add_f64 v[42:43], v[196:197], -v[42:43]
	v_fma_f64 v[44:45], v[134:135], v[52:53], v[44:45]
	s_clause 0x1
	global_load_dwordx4 v[56:59], v[46:47], off offset:1728
	global_load_dwordx4 v[52:55], v[36:37], off offset:32
	v_add_f64 v[44:45], v[198:199], -v[44:45]
	s_waitcnt vmcnt(1)
	v_mul_f64 v[36:37], v[182:183], v[58:59]
	v_fma_f64 v[132:133], v[180:181], v[56:57], -v[36:37]
	v_mul_f64 v[36:37], v[180:181], v[58:59]
	buffer_store_dword v56, off, s[52:55], 0 offset:516 ; 4-byte Folded Spill
	buffer_store_dword v57, off, s[52:55], 0 offset:520 ; 4-byte Folded Spill
	;; [unrolled: 1-line block ×4, first 2 shown]
	v_fma_f64 v[134:135], v[182:183], v[56:57], v[36:37]
	v_mul_f64 v[36:37], v[178:179], v[50:51]
	v_fma_f64 v[46:47], v[176:177], v[48:49], -v[36:37]
	v_mul_f64 v[36:37], v[176:177], v[50:51]
	buffer_store_dword v48, off, s[52:55], 0 offset:452 ; 4-byte Folded Spill
	buffer_store_dword v49, off, s[52:55], 0 offset:456 ; 4-byte Folded Spill
	;; [unrolled: 1-line block ×4, first 2 shown]
	v_fma_f64 v[48:49], v[178:179], v[48:49], v[36:37]
	s_waitcnt vmcnt(0) lgkmcnt(16)
	v_mul_f64 v[36:37], v[142:143], v[54:55]
	v_fma_f64 v[50:51], v[140:141], v[52:53], -v[36:37]
	v_mul_f64 v[36:37], v[140:141], v[54:55]
	buffer_store_dword v52, off, s[52:55], 0 offset:500 ; 4-byte Folded Spill
	buffer_store_dword v53, off, s[52:55], 0 offset:504 ; 4-byte Folded Spill
	buffer_store_dword v54, off, s[52:55], 0 offset:508 ; 4-byte Folded Spill
	buffer_store_dword v55, off, s[52:55], 0 offset:512 ; 4-byte Folded Spill
	v_add_f64 v[50:51], v[132:133], -v[50:51]
	v_fma_f64 v[52:53], v[142:143], v[52:53], v[36:37]
	v_add_co_u32 v36, s0, 0x2800, v200
	v_add_co_ci_u32_e64 v37, s0, 0, v201, s0
	v_add_co_u32 v54, s0, 0x3240, v200
	v_add_co_ci_u32_e64 v55, s0, 0, v201, s0
	s_clause 0x1
	global_load_dwordx4 v[176:179], v[36:37], off offset:128
	global_load_dwordx4 v[64:67], v[54:55], off offset:16
	v_add_f64 v[52:53], v[134:135], -v[52:53]
	s_waitcnt vmcnt(1) lgkmcnt(13)
	v_mul_f64 v[36:37], v[174:175], v[178:179]
	v_fma_f64 v[136:137], v[172:173], v[176:177], -v[36:37]
	v_mul_f64 v[36:37], v[172:173], v[178:179]
	v_fma_f64 v[138:139], v[174:175], v[176:177], v[36:37]
	v_add_co_u32 v36, s0, 0x2880, v200
	v_add_co_ci_u32_e64 v37, s0, 0, v201, s0
	s_clause 0x1
	global_load_dwordx4 v[184:187], v[36:37], off offset:16
	global_load_dwordx4 v[180:183], v[36:37], off offset:32
	s_waitcnt vmcnt(1) lgkmcnt(11)
	v_mul_f64 v[36:37], v[150:151], v[186:187]
	v_fma_f64 v[56:57], v[148:149], v[184:185], -v[36:37]
	v_mul_f64 v[36:37], v[148:149], v[186:187]
	v_fma_f64 v[58:59], v[150:151], v[184:185], v[36:37]
	s_waitcnt vmcnt(0) lgkmcnt(9)
	v_mul_f64 v[36:37], v[146:147], v[182:183]
	v_fma_f64 v[60:61], v[144:145], v[180:181], -v[36:37]
	v_mul_f64 v[36:37], v[144:145], v[182:183]
	v_add_f64 v[60:61], v[136:137], -v[60:61]
	v_fma_f64 v[62:63], v[146:147], v[180:181], v[36:37]
	v_add_co_u32 v36, s0, 0x3000, v200
	v_add_co_ci_u32_e64 v37, s0, 0, v201, s0
	s_clause 0x1
	global_load_dwordx4 v[68:71], v[36:37], off offset:576
	global_load_dwordx4 v[72:75], v[54:55], off offset:32
	v_add_f64 v[62:63], v[138:139], -v[62:63]
	s_waitcnt vmcnt(1)
	v_mul_f64 v[36:37], v[170:171], v[70:71]
	v_fma_f64 v[140:141], v[168:169], v[68:69], -v[36:37]
	v_mul_f64 v[36:37], v[168:169], v[70:71]
	buffer_store_dword v68, off, s[52:55], 0 offset:548 ; 4-byte Folded Spill
	buffer_store_dword v69, off, s[52:55], 0 offset:552 ; 4-byte Folded Spill
	;; [unrolled: 1-line block ×4, first 2 shown]
	v_fma_f64 v[142:143], v[170:171], v[68:69], v[36:37]
	v_mul_f64 v[36:37], v[166:167], v[66:67]
	v_fma_f64 v[54:55], v[164:165], v[64:65], -v[36:37]
	v_mul_f64 v[36:37], v[164:165], v[66:67]
	buffer_store_dword v64, off, s[52:55], 0 offset:532 ; 4-byte Folded Spill
	buffer_store_dword v65, off, s[52:55], 0 offset:536 ; 4-byte Folded Spill
	;; [unrolled: 1-line block ×4, first 2 shown]
	v_fma_f64 v[64:65], v[166:167], v[64:65], v[36:37]
	s_waitcnt vmcnt(0) lgkmcnt(8)
	v_mul_f64 v[36:37], v[154:155], v[74:75]
	v_fma_f64 v[66:67], v[152:153], v[72:73], -v[36:37]
	v_mul_f64 v[36:37], v[152:153], v[74:75]
	buffer_store_dword v72, off, s[52:55], 0 offset:564 ; 4-byte Folded Spill
	buffer_store_dword v73, off, s[52:55], 0 offset:568 ; 4-byte Folded Spill
	;; [unrolled: 1-line block ×4, first 2 shown]
	v_add_f64 v[66:67], v[140:141], -v[66:67]
	v_fma_f64 v[68:69], v[154:155], v[72:73], v[36:37]
	v_add_co_u32 v36, s0, 0x3800, v200
	v_add_co_ci_u32_e64 v37, s0, 0, v201, s0
	global_load_dwordx4 v[70:73], v[36:37], off offset:1024
	v_add_f64 v[68:69], v[142:143], -v[68:69]
	s_waitcnt vmcnt(0) lgkmcnt(5)
	v_mul_f64 v[36:37], v[162:163], v[72:73]
	v_fma_f64 v[144:145], v[160:161], v[70:71], -v[36:37]
	v_mul_f64 v[36:37], v[160:161], v[72:73]
	buffer_store_dword v70, off, s[52:55], 0 offset:580 ; 4-byte Folded Spill
	buffer_store_dword v71, off, s[52:55], 0 offset:584 ; 4-byte Folded Spill
	;; [unrolled: 1-line block ×4, first 2 shown]
	v_fma_f64 v[146:147], v[162:163], v[70:71], v[36:37]
	v_add_co_u32 v36, s0, 0x3c00, v200
	v_add_co_ci_u32_e64 v37, s0, 0, v201, s0
	s_clause 0x1
	global_load_dwordx4 v[72:75], v[36:37], off offset:16
	global_load_dwordx4 v[76:79], v[36:37], off offset:32
	s_waitcnt vmcnt(1) lgkmcnt(3)
	v_mul_f64 v[36:37], v[158:159], v[74:75]
	v_fma_f64 v[70:71], v[156:157], v[72:73], -v[36:37]
	v_mul_f64 v[36:37], v[156:157], v[74:75]
	buffer_store_dword v72, off, s[52:55], 0 offset:612 ; 4-byte Folded Spill
	buffer_store_dword v73, off, s[52:55], 0 offset:616 ; 4-byte Folded Spill
	;; [unrolled: 1-line block ×4, first 2 shown]
	v_fma_f64 v[72:73], v[158:159], v[72:73], v[36:37]
	s_waitcnt vmcnt(0) lgkmcnt(1)
	v_mul_f64 v[36:37], v[130:131], v[78:79]
	v_fma_f64 v[74:75], v[128:129], v[76:77], -v[36:37]
	v_mul_f64 v[36:37], v[128:129], v[78:79]
	buffer_store_dword v76, off, s[52:55], 0 offset:628 ; 4-byte Folded Spill
	buffer_store_dword v77, off, s[52:55], 0 offset:632 ; 4-byte Folded Spill
	;; [unrolled: 1-line block ×4, first 2 shown]
	v_add_f64 v[74:75], v[144:145], -v[74:75]
	v_fma_f64 v[76:77], v[130:131], v[76:77], v[36:37]
	v_add_co_u32 v36, s0, 0x4000, v200
	v_add_co_ci_u32_e64 v37, s0, 0, v201, s0
	global_load_dwordx4 v[78:81], v[36:37], off offset:1472
	v_add_f64 v[76:77], v[146:147], -v[76:77]
	s_waitcnt vmcnt(0)
	v_mul_f64 v[36:37], v[126:127], v[80:81]
	v_fma_f64 v[128:129], v[124:125], v[78:79], -v[36:37]
	v_mul_f64 v[36:37], v[124:125], v[80:81]
	buffer_store_dword v78, off, s[52:55], 0 offset:596 ; 4-byte Folded Spill
	buffer_store_dword v79, off, s[52:55], 0 offset:600 ; 4-byte Folded Spill
	;; [unrolled: 1-line block ×4, first 2 shown]
	v_fma_f64 v[124:125], v[126:127], v[78:79], v[36:37]
	v_add_co_u32 v36, s0, 0x45c0, v200
	v_add_co_ci_u32_e64 v37, s0, 0, v201, s0
	s_clause 0x1
	global_load_dwordx4 v[80:83], v[36:37], off offset:16
	global_load_dwordx4 v[148:151], v[36:37], off offset:32
	v_add_nc_u32_e32 v201, 0x2d80, v254
	v_add_nc_u32_e32 v200, 0x3400, v254
	s_waitcnt vmcnt(1)
	v_mul_f64 v[36:37], v[122:123], v[82:83]
	v_fma_f64 v[78:79], v[120:121], v[80:81], -v[36:37]
	v_mul_f64 v[36:37], v[120:121], v[82:83]
	buffer_store_dword v80, off, s[52:55], 0 offset:644 ; 4-byte Folded Spill
	buffer_store_dword v81, off, s[52:55], 0 offset:648 ; 4-byte Folded Spill
	;; [unrolled: 1-line block ×4, first 2 shown]
	v_fma_f64 v[80:81], v[122:123], v[80:81], v[36:37]
	s_waitcnt vmcnt(0) lgkmcnt(0)
	v_mul_f64 v[36:37], v[118:119], v[150:151]
	v_fma_f64 v[82:83], v[116:117], v[148:149], -v[36:37]
	v_mul_f64 v[36:37], v[116:117], v[150:151]
	buffer_store_dword v148, off, s[52:55], 0 offset:660 ; 4-byte Folded Spill
	buffer_store_dword v149, off, s[52:55], 0 offset:664 ; 4-byte Folded Spill
	;; [unrolled: 1-line block ×4, first 2 shown]
	v_fma_f64 v[118:119], v[118:119], v[148:149], v[36:37]
	v_mul_i32_i24_e32 v36, 48, v240
	v_mul_hi_i32_i24_e32 v37, 48, v240
	v_add_nc_u32_e32 v240, 0x2080, v254
	v_add_co_u32 v120, s0, s14, v36
	v_add_co_ci_u32_e64 v121, s0, s15, v37, s0
	v_add_co_u32 v36, s0, 0x1000, v120
	v_add_co_ci_u32_e64 v37, s0, 0, v121, s0
	global_load_dwordx4 v[244:247], v[36:37], off offset:1280
	s_waitcnt vmcnt(0)
	v_mul_f64 v[36:37], v[94:95], v[246:247]
	v_fma_f64 v[116:117], v[92:93], v[244:245], -v[36:37]
	v_mul_f64 v[36:37], v[92:93], v[246:247]
	v_fma_f64 v[92:93], v[94:95], v[244:245], v[36:37]
	v_add_co_u32 v36, s0, 0x1500, v120
	v_add_co_ci_u32_e64 v37, s0, 0, v121, s0
	s_clause 0x1
	global_load_dwordx4 v[120:123], v[36:37], off offset:16
	global_load_dwordx4 v[150:153], v[36:37], off offset:32
	v_add_f64 v[94:95], v[112:113], -v[38:39]
	v_add_f64 v[38:39], v[40:41], v[42:43]
	s_waitcnt vmcnt(1)
	v_mul_f64 v[36:37], v[190:191], v[122:123]
	v_fma_f64 v[126:127], v[188:189], v[120:121], -v[36:37]
	v_mul_f64 v[36:37], v[188:189], v[122:123]
	buffer_store_dword v120, off, s[52:55], 0 offset:1140 ; 4-byte Folded Spill
	buffer_store_dword v121, off, s[52:55], 0 offset:1144 ; 4-byte Folded Spill
	;; [unrolled: 1-line block ×4, first 2 shown]
	v_fma_f64 v[122:123], v[114:115], 2.0, -v[40:41]
	v_fma_f64 v[114:115], v[40:41], 2.0, -v[38:39]
	v_add_f64 v[40:41], v[108:109], -v[46:47]
	v_add_f64 v[46:47], v[110:111], -v[48:49]
	v_fma_f64 v[48:49], v[108:109], 2.0, -v[40:41]
	v_fma_f64 v[130:131], v[190:191], v[120:121], v[36:37]
	s_waitcnt vmcnt(0)
	v_mul_f64 v[36:37], v[194:195], v[152:153]
	v_fma_f64 v[120:121], v[112:113], 2.0, -v[94:95]
	v_fma_f64 v[148:149], v[192:193], v[150:151], -v[36:37]
	v_mul_f64 v[36:37], v[192:193], v[152:153]
	buffer_store_dword v150, off, s[52:55], 0 offset:1156 ; 4-byte Folded Spill
	buffer_store_dword v151, off, s[52:55], 0 offset:1160 ; 4-byte Folded Spill
	;; [unrolled: 1-line block ×4, first 2 shown]
	v_fma_f64 v[152:153], v[110:111], 2.0, -v[46:47]
	v_fma_f64 v[150:151], v[194:195], v[150:151], v[36:37]
	v_add_f64 v[36:37], v[94:95], -v[44:45]
	v_fma_f64 v[112:113], v[94:95], 2.0, -v[36:37]
	ds_write_b128 v252, v[36:39] offset:16224
	v_add_f64 v[36:37], v[40:41], -v[52:53]
	v_add_f64 v[38:39], v[46:47], v[50:51]
	v_fma_f64 v[108:109], v[40:41], 2.0, -v[36:37]
	v_fma_f64 v[110:111], v[46:47], 2.0, -v[38:39]
	v_add_f64 v[40:41], v[104:105], -v[56:57]
	v_add_f64 v[46:47], v[106:107], -v[58:59]
	ds_write_b128 v252, v[36:39] offset:17056
	v_add_f64 v[36:37], v[40:41], -v[62:63]
	v_add_f64 v[38:39], v[46:47], v[60:61]
	v_fma_f64 v[56:57], v[104:105], 2.0, -v[40:41]
	v_fma_f64 v[58:59], v[106:107], 2.0, -v[46:47]
	v_fma_f64 v[104:105], v[40:41], 2.0, -v[36:37]
	v_fma_f64 v[106:107], v[46:47], 2.0, -v[38:39]
	v_add_f64 v[40:41], v[100:101], -v[54:55]
	v_add_f64 v[46:47], v[102:103], -v[64:65]
	ds_write_b128 v252, v[36:39] offset:17888
	v_add_f64 v[36:37], v[40:41], -v[68:69]
	v_add_f64 v[38:39], v[46:47], v[66:67]
	v_fma_f64 v[54:55], v[100:101], 2.0, -v[40:41]
	v_fma_f64 v[64:65], v[102:103], 2.0, -v[46:47]
	;; [unrolled: 1-line block ×4, first 2 shown]
	v_add_f64 v[40:41], v[96:97], -v[70:71]
	v_add_f64 v[46:47], v[98:99], -v[72:73]
	ds_write_b128 v252, v[36:39] offset:18720
	v_add_f64 v[36:37], v[40:41], -v[76:77]
	v_add_f64 v[38:39], v[46:47], v[74:75]
	v_fma_f64 v[70:71], v[96:97], 2.0, -v[40:41]
	ds_write_b128 v252, v[36:39] offset:19552
	ds_write_b128 v252, v[112:115] offset:5408
	v_fma_f64 v[94:95], v[40:41], 2.0, -v[36:37]
	v_fma_f64 v[96:97], v[46:47], 2.0, -v[38:39]
	;; [unrolled: 1-line block ×5, first 2 shown]
	v_add_f64 v[44:45], v[124:125], -v[118:119]
	v_add_f64 v[46:47], v[128:129], -v[82:83]
	;; [unrolled: 1-line block ×4, first 2 shown]
	ds_write_b128 v252, v[36:39] offset:10816
	ds_write_b128 v252, v[108:111] offset:6240
	v_fma_f64 v[112:113], v[120:121], 2.0, -v[36:37]
	v_fma_f64 v[114:115], v[122:123], 2.0, -v[38:39]
	v_fma_f64 v[36:37], v[132:133], 2.0, -v[50:51]
	v_fma_f64 v[38:39], v[134:135], 2.0, -v[52:53]
	v_add_f64 v[36:37], v[48:49], -v[36:37]
	v_add_f64 v[38:39], v[152:153], -v[38:39]
	ds_write_b128 v252, v[36:39] offset:11648
	ds_write_b128 v252, v[104:107] offset:7072
	v_fma_f64 v[108:109], v[48:49], 2.0, -v[36:37]
	v_fma_f64 v[110:111], v[152:153], 2.0, -v[38:39]
	v_fma_f64 v[36:37], v[136:137], 2.0, -v[60:61]
	v_fma_f64 v[38:39], v[138:139], 2.0, -v[62:63]
	v_add_f64 v[36:37], v[56:57], -v[36:37]
	v_add_f64 v[38:39], v[58:59], -v[38:39]
	ds_write_b128 v252, v[36:39] offset:12480
	ds_write_b128 v252, v[100:103] offset:7904
	v_fma_f64 v[104:105], v[56:57], 2.0, -v[36:37]
	v_fma_f64 v[106:107], v[58:59], 2.0, -v[38:39]
	v_fma_f64 v[36:37], v[140:141], 2.0, -v[66:67]
	v_fma_f64 v[38:39], v[142:143], 2.0, -v[68:69]
	v_add_f64 v[36:37], v[54:55], -v[36:37]
	v_add_f64 v[38:39], v[64:65], -v[38:39]
	ds_write_b128 v252, v[36:39] offset:13312
	ds_write_b128 v252, v[94:97] offset:8736
	v_fma_f64 v[98:99], v[54:55], 2.0, -v[36:37]
	v_fma_f64 v[100:101], v[64:65], 2.0, -v[38:39]
	v_fma_f64 v[36:37], v[144:145], 2.0, -v[74:75]
	v_fma_f64 v[38:39], v[146:147], 2.0, -v[76:77]
	v_add_f64 v[36:37], v[70:71], -v[36:37]
	v_add_f64 v[38:39], v[72:73], -v[38:39]
	v_fma_f64 v[94:95], v[70:71], 2.0, -v[36:37]
	v_fma_f64 v[96:97], v[72:73], 2.0, -v[38:39]
	ds_write_b128 v252, v[36:39] offset:14144
	v_add_f64 v[36:37], v[88:89], -v[78:79]
	v_add_f64 v[38:39], v[90:91], -v[80:81]
	;; [unrolled: 1-line block ×3, first 2 shown]
	v_add_f64 v[120:121], v[38:39], v[46:47]
	v_fma_f64 v[40:41], v[88:89], 2.0, -v[36:37]
	v_fma_f64 v[42:43], v[90:91], 2.0, -v[38:39]
	v_add_f64 v[88:89], v[84:85], -v[126:127]
	v_add_f64 v[90:91], v[86:87], -v[130:131]
	v_fma_f64 v[36:37], v[36:37], 2.0, -v[118:119]
	v_fma_f64 v[38:39], v[38:39], 2.0, -v[120:121]
	;; [unrolled: 1-line block ×4, first 2 shown]
	ds_write_b128 v252, v[36:39] offset:9568
	v_fma_f64 v[36:37], v[128:129], 2.0, -v[46:47]
	v_fma_f64 v[38:39], v[124:125], 2.0, -v[44:45]
	v_add_f64 v[36:37], v[40:41], -v[36:37]
	v_add_f64 v[38:39], v[42:43], -v[38:39]
	ds_write_b128 v252, v[36:39] offset:14976
	ds_write_b128 v252, v[112:115]
	ds_write_b128 v252, v[108:111] offset:832
	v_fma_f64 v[122:123], v[40:41], 2.0, -v[36:37]
	v_fma_f64 v[124:125], v[42:43], 2.0, -v[38:39]
	v_add_f64 v[36:37], v[116:117], -v[148:149]
	v_add_f64 v[38:39], v[92:93], -v[150:151]
	v_fma_f64 v[40:41], v[116:117], 2.0, -v[36:37]
	v_fma_f64 v[42:43], v[92:93], 2.0, -v[38:39]
	v_add_f64 v[44:45], v[88:89], -v[38:39]
	v_add_f64 v[46:47], v[90:91], v[36:37]
	buffer_store_dword v44, off, s[52:55], 0 ; 4-byte Folded Spill
	buffer_store_dword v45, off, s[52:55], 0 offset:4 ; 4-byte Folded Spill
	buffer_store_dword v46, off, s[52:55], 0 offset:8 ; 4-byte Folded Spill
	;; [unrolled: 1-line block ×3, first 2 shown]
	v_add_f64 v[236:237], v[84:85], -v[40:41]
	v_add_f64 v[238:239], v[86:87], -v[42:43]
	v_add_nc_u32_e32 v46, 0x1380, v254
	v_add_nc_u32_e32 v254, 0x4e00, v254
	ds_write_b128 v252, v[104:107] offset:1664
	ds_write_b128 v252, v[98:101] offset:2496
	;; [unrolled: 1-line block ×5, first 2 shown]
	s_and_saveexec_b32 s0, vcc_lo
	s_cbranch_execz .LBB0_7
; %bb.6:
	s_clause 0x3
	buffer_load_dword v40, off, s[52:55], 0
	buffer_load_dword v41, off, s[52:55], 0 offset:4
	buffer_load_dword v42, off, s[52:55], 0 offset:8
	;; [unrolled: 1-line block ×3, first 2 shown]
	v_mov_b32_e32 v36, v236
	v_mov_b32_e32 v37, v237
	;; [unrolled: 1-line block ×4, first 2 shown]
	v_fma_f64 v[84:85], v[84:85], 2.0, -v[36:37]
	v_fma_f64 v[86:87], v[86:87], 2.0, -v[38:39]
	s_waitcnt vmcnt(0)
	v_fma_f64 v[90:91], v[90:91], 2.0, -v[42:43]
	v_fma_f64 v[88:89], v[88:89], 2.0, -v[40:41]
	ds_write_b128 v252, v[236:239] offset:15808
	ds_write_b128 v252, v[84:87] offset:4992
	;; [unrolled: 1-line block ×4, first 2 shown]
.LBB0_7:
	s_or_b32 exec_lo, exec_lo, s0
	v_lshlrev_b32_e32 v36, 4, v253
	s_add_u32 s0, s12, 0x5480
	s_addc_u32 s1, s13, 0
	s_waitcnt lgkmcnt(0)
	s_waitcnt_vscnt null, 0x0
	s_barrier
	buffer_gl0_inv
	s_clause 0x2
	global_load_dwordx4 v[100:103], v36, s[0:1]
	global_load_dwordx4 v[108:111], v36, s[0:1] offset:832
	global_load_dwordx4 v[116:119], v36, s[0:1] offset:1664
	buffer_load_dword v37, off, s[52:55], 0 offset:1120 ; 4-byte Folded Reload
	s_mov_b32 s24, 0x4267c47c
	s_mov_b32 s12, 0x42a4c3d2
	;; [unrolled: 1-line block ×33, first 2 shown]
	s_waitcnt vmcnt(0)
	global_load_dwordx4 v[132:135], v37, s[0:1]
	v_add_co_u32 v208, s0, s0, v36
	v_add_co_ci_u32_e64 v209, null, s1, 0, s0
	v_add_co_u32 v36, s0, 0x2800, v208
	v_add_co_ci_u32_e64 v37, s0, 0, v209, s0
	s_clause 0x1
	global_load_dwordx4 v[192:195], v[36:37], off offset:576
	global_load_dwordx4 v[128:131], v[36:37], off offset:1408
	v_add_co_u32 v36, s0, 0x3000, v208
	v_add_co_ci_u32_e64 v37, s0, 0, v209, s0
	v_add_co_u32 v38, s0, 0x800, v208
	v_add_co_ci_u32_e64 v39, s0, 0, v209, s0
	s_clause 0x2
	global_load_dwordx4 v[124:127], v[36:37], off offset:192
	global_load_dwordx4 v[120:123], v[38:39], off offset:448
	;; [unrolled: 1-line block ×3, first 2 shown]
	v_add_co_u32 v144, s0, 0x1000, v208
	v_add_co_ci_u32_e64 v145, s0, 0, v209, s0
	s_clause 0x1
	global_load_dwordx4 v[104:107], v[36:37], off offset:1856
	global_load_dwordx4 v[96:99], v[144:145], off offset:64
	v_add_co_u32 v146, s0, 0x3800, v208
	v_add_co_ci_u32_e64 v147, s0, 0, v209, s0
	s_clause 0x1
	global_load_dwordx4 v[88:91], v[146:147], off offset:640
	global_load_dwordx4 v[84:87], v[144:145], off offset:896
	ds_read_b128 v[92:95], v252
	ds_read_b128 v[212:215], v252 offset:832
	ds_read_b128 v[216:219], v252 offset:1664
	;; [unrolled: 1-line block ×5, first 2 shown]
	s_waitcnt lgkmcnt(5)
	v_mul_f64 v[36:37], v[94:95], v[102:103]
	v_mul_f64 v[38:39], v[92:93], v[102:103]
	s_waitcnt lgkmcnt(4)
	v_mul_f64 v[40:41], v[214:215], v[110:111]
	v_mul_f64 v[42:43], v[212:213], v[110:111]
	v_fma_f64 v[92:93], v[92:93], v[100:101], -v[36:37]
	v_fma_f64 v[94:95], v[94:95], v[100:101], v[38:39]
	s_waitcnt lgkmcnt(3)
	v_mul_f64 v[36:37], v[218:219], v[118:119]
	v_mul_f64 v[38:39], v[216:217], v[118:119]
	v_fma_f64 v[100:101], v[212:213], v[108:109], -v[40:41]
	v_fma_f64 v[102:103], v[214:215], v[108:109], v[42:43]
	ds_read_b128 v[212:215], v252 offset:10816
	v_fma_f64 v[108:109], v[216:217], v[116:117], -v[36:37]
	v_fma_f64 v[110:111], v[218:219], v[116:117], v[38:39]
	ds_read_b128 v[116:119], v252 offset:9984
	ds_read_b128 v[216:219], v252 offset:11648
	;; [unrolled: 1-line block ×3, first 2 shown]
	s_waitcnt vmcnt(9) lgkmcnt(6)
	v_mul_f64 v[40:41], v[138:139], v[134:135]
	v_mul_f64 v[42:43], v[136:137], v[134:135]
	s_waitcnt vmcnt(8) lgkmcnt(3)
	v_mul_f64 v[36:37], v[214:215], v[194:195]
	v_mul_f64 v[38:39], v[212:213], v[194:195]
	v_fma_f64 v[134:135], v[136:137], v[132:133], -v[40:41]
	v_fma_f64 v[136:137], v[138:139], v[132:133], v[42:43]
	s_waitcnt vmcnt(6) lgkmcnt(0)
	v_mul_f64 v[40:41], v[222:223], v[126:127]
	v_mul_f64 v[42:43], v[220:221], v[126:127]
	v_fma_f64 v[212:213], v[212:213], v[192:193], -v[36:37]
	v_fma_f64 v[214:215], v[214:215], v[192:193], v[38:39]
	v_mul_f64 v[36:37], v[218:219], v[130:131]
	v_mul_f64 v[38:39], v[216:217], v[130:131]
	ds_read_b128 v[130:133], v252 offset:3328
	ds_read_b128 v[192:195], v252 offset:4160
	v_fma_f64 v[126:127], v[216:217], v[128:129], -v[36:37]
	v_fma_f64 v[128:129], v[218:219], v[128:129], v[38:39]
	s_waitcnt vmcnt(5)
	v_mul_f64 v[36:37], v[190:191], v[122:123]
	v_mul_f64 v[38:39], v[188:189], v[122:123]
	v_fma_f64 v[122:123], v[220:221], v[124:125], -v[40:41]
	v_fma_f64 v[124:125], v[222:223], v[124:125], v[42:43]
	s_waitcnt vmcnt(4) lgkmcnt(1)
	v_mul_f64 v[40:41], v[132:133], v[114:115]
	v_mul_f64 v[42:43], v[130:131], v[114:115]
	s_waitcnt vmcnt(2) lgkmcnt(0)
	v_mul_f64 v[44:45], v[194:195], v[98:99]
	ds_read_b128 v[216:219], v252 offset:15808
	v_fma_f64 v[188:189], v[188:189], v[120:121], -v[36:37]
	v_fma_f64 v[190:191], v[190:191], v[120:121], v[38:39]
	v_mul_f64 v[36:37], v[142:143], v[106:107]
	v_mul_f64 v[38:39], v[140:141], v[106:107]
	v_fma_f64 v[130:131], v[130:131], v[112:113], -v[40:41]
	v_fma_f64 v[132:133], v[132:133], v[112:113], v[42:43]
	ds_read_b128 v[112:115], v252 offset:14976
	v_mul_f64 v[40:41], v[192:193], v[98:99]
	v_fma_f64 v[192:193], v[192:193], v[96:97], -v[44:45]
	v_fma_f64 v[138:139], v[140:141], v[104:105], -v[36:37]
	v_fma_f64 v[140:141], v[142:143], v[104:105], v[38:39]
	s_waitcnt vmcnt(1) lgkmcnt(0)
	v_mul_f64 v[36:37], v[114:115], v[90:91]
	v_mul_f64 v[38:39], v[112:113], v[90:91]
	s_clause 0x1
	global_load_dwordx4 v[104:107], v[146:147], off offset:1472
	global_load_dwordx4 v[142:145], v[144:145], off offset:1728
	v_fma_f64 v[194:195], v[194:195], v[96:97], v[40:41]
	ds_read_b128 v[96:99], v252 offset:4992
	ds_read_b128 v[220:223], v252 offset:5824
	v_add_co_u32 v40, s0, 0x4000, v208
	v_add_co_ci_u32_e64 v41, s0, 0, v209, s0
	ds_read_b128 v[224:227], v252 offset:6656
	ds_read_b128 v[232:235], v252 offset:7488
	v_fma_f64 v[112:113], v[112:113], v[88:89], -v[36:37]
	v_fma_f64 v[114:115], v[114:115], v[88:89], v[38:39]
	s_waitcnt vmcnt(2) lgkmcnt(3)
	v_mul_f64 v[36:37], v[98:99], v[86:87]
	v_mul_f64 v[38:39], v[96:97], v[86:87]
	v_fma_f64 v[86:87], v[96:97], v[84:85], -v[36:37]
	v_fma_f64 v[88:89], v[98:99], v[84:85], v[38:39]
	global_load_dwordx4 v[96:99], v[40:41], off offset:256
	s_waitcnt vmcnt(2)
	v_mul_f64 v[36:37], v[218:219], v[106:107]
	v_mul_f64 v[38:39], v[216:217], v[106:107]
	s_waitcnt vmcnt(1) lgkmcnt(2)
	v_mul_f64 v[42:43], v[222:223], v[144:145]
	v_fma_f64 v[216:217], v[216:217], v[104:105], -v[36:37]
	v_mul_f64 v[36:37], v[220:221], v[144:145]
	v_fma_f64 v[218:219], v[218:219], v[104:105], v[38:39]
	ds_read_b128 v[104:107], v252 offset:16640
	v_fma_f64 v[144:145], v[220:221], v[142:143], -v[42:43]
	v_add_co_u32 v42, s0, 0x1800, v208
	v_add_co_ci_u32_e64 v43, s0, 0, v209, s0
	global_load_dwordx4 v[228:231], v[42:43], off offset:1344
	v_fma_f64 v[146:147], v[222:223], v[142:143], v[36:37]
	ds_read_b128 v[220:223], v252 offset:17472
	s_waitcnt vmcnt(1) lgkmcnt(1)
	v_mul_f64 v[36:37], v[106:107], v[98:99]
	v_mul_f64 v[38:39], v[104:105], v[98:99]
	v_fma_f64 v[104:105], v[104:105], v[96:97], -v[36:37]
	v_fma_f64 v[106:107], v[106:107], v[96:97], v[38:39]
	global_load_dwordx4 v[96:99], v[42:43], off offset:512
	s_waitcnt vmcnt(0)
	v_mul_f64 v[36:37], v[226:227], v[98:99]
	v_mul_f64 v[38:39], v[224:225], v[98:99]
	v_fma_f64 v[224:225], v[224:225], v[96:97], -v[36:37]
	v_fma_f64 v[226:227], v[226:227], v[96:97], v[38:39]
	s_clause 0x1
	global_load_dwordx4 v[96:99], v[40:41], off offset:1088
	global_load_dwordx4 v[196:199], v[40:41], off offset:1920
	v_add_co_u32 v40, s0, 0x2000, v208
	v_add_co_ci_u32_e64 v41, s0, 0, v209, s0
	s_waitcnt vmcnt(1) lgkmcnt(0)
	v_mul_f64 v[36:37], v[222:223], v[98:99]
	v_mul_f64 v[38:39], v[220:221], v[98:99]
	v_fma_f64 v[220:221], v[220:221], v[96:97], -v[36:37]
	v_fma_f64 v[222:223], v[222:223], v[96:97], v[38:39]
	v_mul_f64 v[36:37], v[234:235], v[230:231]
	v_mul_f64 v[38:39], v[232:233], v[230:231]
	v_fma_f64 v[96:97], v[232:233], v[228:229], -v[36:37]
	v_fma_f64 v[98:99], v[234:235], v[228:229], v[38:39]
	ds_read_b128 v[228:231], v252 offset:18304
	ds_read_b128 v[232:235], v252 offset:19136
	s_waitcnt vmcnt(0) lgkmcnt(1)
	v_mul_f64 v[36:37], v[230:231], v[198:199]
	v_mul_f64 v[38:39], v[228:229], v[198:199]
	v_fma_f64 v[228:229], v[228:229], v[196:197], -v[36:37]
	v_fma_f64 v[230:231], v[230:231], v[196:197], v[38:39]
	global_load_dwordx4 v[196:199], v[40:41], off offset:128
	ds_read_b128 v[36:39], v252 offset:8320
	ds_read_b128 v[148:151], v252 offset:9152
	global_load_dwordx4 v[152:155], v[40:41], off offset:960
	s_waitcnt vmcnt(1) lgkmcnt(1)
	v_mul_f64 v[42:43], v[38:39], v[198:199]
	v_mul_f64 v[44:45], v[36:37], v[198:199]
	v_fma_f64 v[36:37], v[36:37], v[196:197], -v[42:43]
	v_add_co_u32 v42, s0, 0x4800, v208
	v_add_co_ci_u32_e64 v43, s0, 0, v209, s0
	v_fma_f64 v[38:39], v[38:39], v[196:197], v[44:45]
	s_clause 0x1
	global_load_dwordx4 v[196:199], v[40:41], off offset:1792
	global_load_dwordx4 v[156:159], v[42:43], off offset:704
	s_waitcnt vmcnt(0)
	v_mul_f64 v[40:41], v[234:235], v[158:159]
	v_mul_f64 v[44:45], v[232:233], v[158:159]
	v_fma_f64 v[232:233], v[232:233], v[156:157], -v[40:41]
	s_waitcnt lgkmcnt(0)
	v_mul_f64 v[40:41], v[150:151], v[154:155]
	v_fma_f64 v[234:235], v[234:235], v[156:157], v[44:45]
	v_mul_f64 v[44:45], v[148:149], v[154:155]
	v_fma_f64 v[148:149], v[148:149], v[152:153], -v[40:41]
	v_add_co_u32 v40, s0, 0x5000, v208
	v_add_co_ci_u32_e64 v41, s0, 0, v209, s0
	v_fma_f64 v[150:151], v[150:151], v[152:153], v[44:45]
	s_clause 0x1
	global_load_dwordx4 v[152:155], v[42:43], off offset:1536
	global_load_dwordx4 v[156:159], v[40:41], off offset:320
	ds_read_b128 v[206:209], v252 offset:19968
	ds_read_b128 v[160:163], v252 offset:20800
	s_mov_b32 s0, 0x66966769
	s_mov_b32 s1, 0xbfefc445
	;; [unrolled: 1-line block ×3, first 2 shown]
	s_waitcnt vmcnt(1) lgkmcnt(1)
	v_mul_f64 v[40:41], v[208:209], v[154:155]
	v_mul_f64 v[42:43], v[206:207], v[154:155]
	v_fma_f64 v[206:207], v[206:207], v[152:153], -v[40:41]
	v_fma_f64 v[208:209], v[208:209], v[152:153], v[42:43]
	v_mul_f64 v[40:41], v[118:119], v[198:199]
	v_mul_f64 v[42:43], v[116:117], v[198:199]
	v_fma_f64 v[116:117], v[116:117], v[196:197], -v[40:41]
	v_fma_f64 v[118:119], v[118:119], v[196:197], v[42:43]
	s_waitcnt vmcnt(0) lgkmcnt(0)
	v_mul_f64 v[40:41], v[162:163], v[158:159]
	v_mul_f64 v[42:43], v[160:161], v[158:159]
	v_fma_f64 v[152:153], v[160:161], v[156:157], -v[40:41]
	v_fma_f64 v[154:155], v[162:163], v[156:157], v[42:43]
	ds_write_b128 v252, v[92:95]
	ds_write_b128 v252, v[100:103] offset:832
	ds_write_b128 v252, v[108:111] offset:1664
	ds_write_b128 v252, v[134:137] offset:13312
	ds_write_b128 v252, v[212:215] offset:10816
	ds_write_b128 v252, v[126:129] offset:11648
	ds_write_b128 v252, v[122:125] offset:12480
	ds_write_b128 v252, v[188:191] offset:2496
	ds_write_b128 v252, v[130:133] offset:3328
	ds_write_b128 v252, v[138:141] offset:14144
	ds_write_b128 v252, v[192:195] offset:4160
	ds_write_b128 v252, v[112:115] offset:14976
	ds_write_b128 v252, v[86:89] offset:4992
	ds_write_b128 v252, v[216:219] offset:15808
	ds_write_b128 v252, v[144:147] offset:5824
	ds_write_b128 v252, v[104:107] offset:16640
	ds_write_b128 v252, v[224:227] offset:6656
	ds_write_b128 v252, v[220:223] offset:17472
	ds_write_b128 v252, v[96:99] offset:7488
	ds_write_b128 v252, v[228:231] offset:18304
	ds_write_b128 v252, v[36:39] offset:8320
	ds_write_b128 v252, v[232:235] offset:19136
	ds_write_b128 v252, v[148:151] offset:9152
	ds_write_b128 v252, v[206:209] offset:19968
	ds_write_b128 v252, v[116:119] offset:9984
	ds_write_b128 v252, v[152:155] offset:20800
	s_waitcnt lgkmcnt(0)
	s_barrier
	buffer_gl0_inv
	ds_read_b128 v[36:39], v252 offset:10816
	ds_read_b128 v[84:87], v252
	ds_read_b128 v[88:91], v252 offset:832
	ds_read_b128 v[92:95], v252 offset:11648
	;; [unrolled: 1-line block ×19, first 2 shown]
	s_waitcnt lgkmcnt(19)
	v_add_f64 v[36:37], v[84:85], -v[36:37]
	v_add_f64 v[38:39], v[86:87], -v[38:39]
	s_waitcnt lgkmcnt(17)
	v_add_f64 v[192:193], v[88:89], -v[92:93]
	v_add_f64 v[194:195], v[90:91], -v[94:95]
	ds_read_b128 v[92:95], v252 offset:19136
	ds_read_b128 v[228:231], v252 offset:8320
	;; [unrolled: 1-line block ×3, first 2 shown]
	s_waitcnt lgkmcnt(18)
	v_add_f64 v[196:197], v[100:101], -v[96:97]
	v_add_f64 v[198:199], v[102:103], -v[98:99]
	s_waitcnt lgkmcnt(14)
	v_add_f64 v[212:213], v[116:117], -v[112:113]
	v_add_f64 v[214:215], v[118:119], -v[114:115]
	;; [unrolled: 3-line block ×3, first 2 shown]
	v_add_f64 v[206:207], v[104:105], -v[108:109]
	v_add_f64 v[208:209], v[106:107], -v[110:111]
	s_waitcnt lgkmcnt(10)
	v_add_f64 v[220:221], v[136:137], -v[124:125]
	v_add_f64 v[222:223], v[138:139], -v[126:127]
	s_waitcnt lgkmcnt(8)
	;; [unrolled: 3-line block ×4, first 2 shown]
	v_add_f64 v[160:161], v[152:153], -v[160:161]
	v_add_f64 v[162:163], v[154:155], -v[162:163]
	v_fma_f64 v[188:189], v[84:85], 2.0, -v[36:37]
	v_fma_f64 v[190:191], v[86:87], 2.0, -v[38:39]
	s_waitcnt lgkmcnt(1)
	v_add_f64 v[164:165], v[228:229], -v[92:93]
	v_add_f64 v[166:167], v[230:231], -v[94:95]
	ds_read_b128 v[92:95], v252 offset:19968
	ds_read_b128 v[96:99], v252 offset:20800
	s_waitcnt lgkmcnt(0)
	s_barrier
	buffer_gl0_inv
	buffer_load_dword v40, off, s[52:55], 0 offset:1116 ; 4-byte Folded Reload
	v_fma_f64 v[128:129], v[88:89], 2.0, -v[192:193]
	v_fma_f64 v[130:131], v[90:91], 2.0, -v[194:195]
	;; [unrolled: 1-line block ×14, first 2 shown]
	v_add_f64 v[168:169], v[232:233], -v[92:93]
	v_add_f64 v[170:171], v[234:235], -v[94:95]
	;; [unrolled: 1-line block ×4, first 2 shown]
	v_fma_f64 v[100:101], v[148:149], 2.0, -v[144:145]
	v_fma_f64 v[102:103], v[150:151], 2.0, -v[146:147]
	;; [unrolled: 1-line block ×10, first 2 shown]
	s_waitcnt vmcnt(0)
	ds_write_b128 v40, v[36:39] offset:16
	buffer_load_dword v37, off, s[52:55], 0 offset:1112 ; 4-byte Folded Reload
	s_waitcnt vmcnt(0)
	ds_write_b128 v37, v[192:195] offset:16
	ds_write_b128 v255, v[196:199] offset:16
	;; [unrolled: 1-line block ×5, first 2 shown]
	buffer_load_dword v36, off, s[52:55], 0 offset:1092 ; 4-byte Folded Reload
	s_waitcnt vmcnt(0)
	ds_write_b128 v36, v[220:223] offset:16
	ds_write_b128 v201, v[224:227] offset:16
	;; [unrolled: 1-line block ×7, first 2 shown]
	ds_write_b128 v40, v[188:191]
	ds_write_b128 v37, v[128:131]
	;; [unrolled: 1-line block ×13, first 2 shown]
	s_waitcnt lgkmcnt(0)
	s_barrier
	buffer_gl0_inv
	ds_read_b128 v[36:39], v252 offset:1664
	ds_read_b128 v[84:87], v252 offset:2496
	;; [unrolled: 1-line block ×9, first 2 shown]
	s_clause 0x3
	buffer_load_dword v64, off, s[52:55], 0 offset:964
	buffer_load_dword v65, off, s[52:55], 0 offset:968
	;; [unrolled: 1-line block ×4, first 2 shown]
	ds_read_b128 v[132:135], v252 offset:8320
	ds_read_b128 v[146:149], v252 offset:9152
	;; [unrolled: 1-line block ×6, first 2 shown]
	s_waitcnt vmcnt(0) lgkmcnt(14)
	v_mul_f64 v[40:41], v[66:67], v[38:39]
	v_mul_f64 v[42:43], v[66:67], v[36:37]
	s_waitcnt lgkmcnt(13)
	v_mul_f64 v[44:45], v[66:67], v[86:87]
	v_mul_f64 v[46:47], v[66:67], v[84:85]
	s_clause 0x3
	buffer_load_dword v66, off, s[52:55], 0 offset:1028
	buffer_load_dword v67, off, s[52:55], 0 offset:1032
	;; [unrolled: 1-line block ×4, first 2 shown]
	ds_read_b128 v[166:169], v252 offset:13312
	ds_read_b128 v[170:173], v252 offset:14144
	s_clause 0x3
	buffer_load_dword v70, off, s[52:55], 0 offset:1096
	buffer_load_dword v71, off, s[52:55], 0 offset:1100
	;; [unrolled: 1-line block ×4, first 2 shown]
	ds_read_b128 v[188:191], v252 offset:14976
	ds_read_b128 v[192:195], v252 offset:15808
	v_fma_f64 v[140:141], v[64:65], v[36:37], v[40:41]
	v_fma_f64 v[144:145], v[64:65], v[38:39], -v[42:43]
	ds_read_b128 v[36:39], v252 offset:20800
	s_clause 0x3
	buffer_load_dword v76, off, s[52:55], 0 offset:1076
	buffer_load_dword v77, off, s[52:55], 0 offset:1080
	;; [unrolled: 1-line block ×4, first 2 shown]
	v_fma_f64 v[104:105], v[64:65], v[84:85], v[44:45]
	v_fma_f64 v[106:107], v[64:65], v[86:87], -v[46:47]
	s_waitcnt vmcnt(8) lgkmcnt(17)
	v_mul_f64 v[48:49], v[68:69], v[90:91]
	v_mul_f64 v[50:51], v[68:69], v[88:89]
	s_waitcnt lgkmcnt(14)
	v_mul_f64 v[56:57], v[68:69], v[102:103]
	v_mul_f64 v[58:59], v[68:69], v[100:101]
	s_waitcnt vmcnt(4)
	v_mul_f64 v[52:53], v[72:73], v[94:95]
	v_mul_f64 v[54:55], v[72:73], v[92:93]
	s_waitcnt lgkmcnt(13)
	v_mul_f64 v[60:61], v[72:73], v[110:111]
	v_mul_f64 v[62:63], v[72:73], v[108:109]
	s_clause 0x7
	buffer_load_dword v72, off, s[52:55], 0 offset:1060
	buffer_load_dword v73, off, s[52:55], 0 offset:1064
	;; [unrolled: 1-line block ×8, first 2 shown]
	s_waitcnt vmcnt(8) lgkmcnt(12)
	v_mul_f64 v[40:41], v[78:79], v[114:115]
	v_fma_f64 v[138:139], v[66:67], v[88:89], v[48:49]
	v_fma_f64 v[142:143], v[66:67], v[90:91], -v[50:51]
	v_fma_f64 v[82:83], v[66:67], v[100:101], v[56:57]
	v_fma_f64 v[84:85], v[66:67], v[102:103], -v[58:59]
	ds_read_b128 v[86:89], v252 offset:16640
	ds_read_b128 v[100:103], v252 offset:17472
	s_clause 0x3
	buffer_load_dword v66, off, s[52:55], 0 offset:1044
	buffer_load_dword v67, off, s[52:55], 0 offset:1048
	;; [unrolled: 1-line block ×4, first 2 shown]
	v_fma_f64 v[128:129], v[70:71], v[92:93], v[52:53]
	ds_read_b128 v[90:93], v252 offset:18304
	ds_read_b128 v[196:199], v252 offset:19136
	s_clause 0x13
	buffer_load_dword v224, off, s[52:55], 0 offset:1012
	buffer_load_dword v225, off, s[52:55], 0 offset:1016
	;; [unrolled: 1-line block ×20, first 2 shown]
	v_mul_f64 v[42:43], v[78:79], v[112:113]
	s_waitcnt lgkmcnt(15)
	v_mul_f64 v[46:47], v[78:79], v[118:119]
	v_mul_f64 v[64:65], v[78:79], v[116:117]
	v_fma_f64 v[130:131], v[70:71], v[94:95], -v[54:55]
	v_fma_f64 v[78:79], v[70:71], v[108:109], v[60:61]
	v_fma_f64 v[80:81], v[70:71], v[110:111], -v[62:63]
	v_fma_f64 v[122:123], v[76:77], v[112:113], v[40:41]
	v_fma_f64 v[124:125], v[76:77], v[114:115], -v[42:43]
	s_waitcnt vmcnt(28) lgkmcnt(14)
	v_mul_f64 v[44:45], v[74:75], v[134:135]
	v_mul_f64 v[48:49], v[74:75], v[132:133]
	s_waitcnt vmcnt(24)
	v_mul_f64 v[50:51], v[202:203], v[96:97]
	s_waitcnt lgkmcnt(13)
	v_mul_f64 v[52:53], v[74:75], v[148:149]
	v_mul_f64 v[54:55], v[74:75], v[146:147]
	v_fma_f64 v[74:75], v[76:77], v[116:117], v[46:47]
	v_fma_f64 v[76:77], v[76:77], v[118:119], -v[64:65]
	v_mul_f64 v[42:43], v[202:203], v[98:99]
	s_waitcnt vmcnt(20) lgkmcnt(12)
	v_mul_f64 v[56:57], v[68:69], v[152:153]
	v_mul_f64 v[58:59], v[68:69], v[150:151]
	s_waitcnt lgkmcnt(11)
	v_mul_f64 v[60:61], v[68:69], v[156:157]
	v_mul_f64 v[62:63], v[68:69], v[154:155]
	v_fma_f64 v[110:111], v[72:73], v[132:133], v[44:45]
	v_fma_f64 v[112:113], v[72:73], v[134:135], -v[48:49]
	s_waitcnt vmcnt(16) lgkmcnt(10)
	v_mul_f64 v[44:45], v[226:227], v[158:159]
	v_fma_f64 v[118:119], v[200:201], v[98:99], -v[50:51]
	v_fma_f64 v[70:71], v[72:73], v[146:147], v[52:53]
	s_waitcnt vmcnt(12) lgkmcnt(8)
	v_mul_f64 v[52:53], v[222:223], v[166:167]
	v_mul_f64 v[40:41], v[226:227], v[160:161]
	;; [unrolled: 1-line block ×3, first 2 shown]
	v_fma_f64 v[72:73], v[72:73], v[148:149], -v[54:55]
	s_waitcnt vmcnt(8) lgkmcnt(6)
	v_mul_f64 v[54:55], v[218:219], v[190:191]
	v_mul_f64 v[68:69], v[218:219], v[188:189]
	s_waitcnt vmcnt(4) lgkmcnt(3)
	v_mul_f64 v[94:95], v[214:215], v[88:89]
	s_waitcnt vmcnt(0) lgkmcnt(1)
	v_mul_f64 v[98:99], v[206:207], v[92:93]
	v_mul_f64 v[148:149], v[222:223], v[172:173]
	v_fma_f64 v[120:121], v[200:201], v[96:97], v[42:43]
	v_mul_f64 v[146:147], v[226:227], v[162:163]
	v_mul_f64 v[42:43], v[222:223], v[170:171]
	;; [unrolled: 1-line block ×3, first 2 shown]
	v_fma_f64 v[48:49], v[66:67], v[150:151], v[56:57]
	v_mul_f64 v[56:57], v[214:215], v[86:87]
	v_fma_f64 v[108:109], v[66:67], v[152:153], -v[58:59]
	v_fma_f64 v[64:65], v[66:67], v[154:155], v[60:61]
	v_fma_f64 v[66:67], v[66:67], v[156:157], -v[62:63]
	v_mul_f64 v[60:61], v[206:207], v[90:91]
	v_mul_f64 v[62:63], v[226:227], v[164:165]
	v_fma_f64 v[58:59], v[224:225], v[160:161], -v[44:45]
	v_add_f64 v[44:45], v[144:145], -v[118:119]
	v_fma_f64 v[116:117], v[220:221], v[168:169], -v[52:53]
	v_mul_f64 v[52:53], v[218:219], v[192:193]
	v_mul_f64 v[152:153], v[214:215], v[100:101]
	v_fma_f64 v[50:51], v[224:225], v[158:159], v[40:41]
	v_add_f64 v[150:151], v[144:145], v[118:119]
	v_mul_f64 v[40:41], v[218:219], v[194:195]
	v_fma_f64 v[114:115], v[220:221], v[166:167], v[46:47]
	v_fma_f64 v[126:127], v[216:217], v[188:189], v[54:55]
	v_fma_f64 v[136:137], v[216:217], v[190:191], -v[68:69]
	s_waitcnt lgkmcnt(0)
	v_mul_f64 v[154:155], v[206:207], v[198:199]
	v_fma_f64 v[134:135], v[212:213], v[86:87], v[94:95]
	v_mul_f64 v[156:157], v[202:203], v[38:39]
	v_fma_f64 v[46:47], v[204:205], v[90:91], v[98:99]
	v_fma_f64 v[86:87], v[224:225], v[164:165], -v[146:147]
	v_fma_f64 v[132:133], v[212:213], v[88:89], -v[56:57]
	v_mul_f64 v[56:57], v[206:207], v[196:197]
	v_fma_f64 v[88:89], v[220:221], v[170:171], v[148:149]
	v_add_f64 v[146:147], v[140:141], -v[120:121]
	v_fma_f64 v[54:55], v[204:205], v[92:93], -v[60:61]
	v_mul_f64 v[60:61], v[202:203], v[36:37]
	v_fma_f64 v[68:69], v[224:225], v[162:163], v[62:63]
	v_add_f64 v[62:63], v[140:141], v[120:121]
	v_mul_f64 v[158:159], v[44:45], s[24:25]
	v_mul_f64 v[148:149], v[44:45], s[12:13]
	v_fma_f64 v[94:95], v[216:217], v[194:195], -v[52:53]
	v_mul_f64 v[52:53], v[44:45], s[0:1]
	v_fma_f64 v[98:99], v[212:213], v[102:103], -v[152:153]
	v_mul_f64 v[152:153], v[44:45], s[18:19]
	v_mul_f64 v[160:161], v[150:151], s[26:27]
	v_fma_f64 v[90:91], v[220:221], v[172:173], -v[42:43]
	v_mul_f64 v[162:163], v[150:151], s[14:15]
	v_fma_f64 v[92:93], v[216:217], v[192:193], v[40:41]
	v_fma_f64 v[96:97], v[212:213], v[100:101], v[96:97]
	v_mul_f64 v[164:165], v[150:151], s[4:5]
	v_fma_f64 v[100:101], v[204:205], v[196:197], v[154:155]
	v_mul_f64 v[154:155], v[150:151], s[20:21]
	v_fma_f64 v[40:41], v[200:201], v[36:37], v[156:157]
	v_fma_f64 v[102:103], v[204:205], v[198:199], -v[56:57]
	v_mul_f64 v[56:57], v[44:45], s[30:31]
	v_mul_f64 v[44:45], v[44:45], s[38:39]
	;; [unrolled: 1-line block ×3, first 2 shown]
	v_fma_f64 v[42:43], v[200:201], v[38:39], -v[60:61]
	v_mul_f64 v[60:61], v[150:151], s[40:41]
	ds_read_b128 v[36:39], v252
	v_fma_f64 v[150:151], v[62:63], s[26:27], v[158:159]
	v_fma_f64 v[158:159], v[62:63], s[26:27], -v[158:159]
	v_fma_f64 v[168:169], v[62:63], s[14:15], v[148:149]
	v_fma_f64 v[148:149], v[62:63], s[14:15], -v[148:149]
	v_fma_f64 v[172:173], v[62:63], s[4:5], v[52:53]
	v_fma_f64 v[52:53], v[62:63], s[4:5], -v[52:53]
	v_fma_f64 v[188:189], v[62:63], s[20:21], v[152:153]
	v_fma_f64 v[152:153], v[62:63], s[20:21], -v[152:153]
	v_fma_f64 v[166:167], v[146:147], s[28:29], v[160:161]
	v_fma_f64 v[160:161], v[146:147], s[24:25], v[160:161]
	;; [unrolled: 1-line block ×9, first 2 shown]
	v_fma_f64 v[56:57], v[62:63], s[34:35], -v[56:57]
	v_fma_f64 v[196:197], v[62:63], s[40:41], v[44:45]
	v_fma_f64 v[44:45], v[62:63], s[40:41], -v[44:45]
	v_fma_f64 v[194:195], v[146:147], s[36:37], v[156:157]
	v_fma_f64 v[156:157], v[146:147], s[30:31], v[156:157]
	;; [unrolled: 1-line block ×4, first 2 shown]
	ds_read_b128 v[60:63], v252 offset:832
	s_waitcnt lgkmcnt(1)
	v_add_f64 v[140:141], v[36:37], v[140:141]
	v_add_f64 v[150:151], v[36:37], v[150:151]
	;; [unrolled: 1-line block ×17, first 2 shown]
	v_add_f64 v[44:45], v[142:143], -v[54:55]
	v_add_f64 v[162:163], v[38:39], v[162:163]
	v_add_f64 v[174:175], v[38:39], v[174:175]
	;; [unrolled: 1-line block ×11, first 2 shown]
	v_add_f64 v[138:139], v[138:139], -v[46:47]
	v_add_f64 v[208:209], v[128:129], -v[134:135]
	v_add_f64 v[144:145], v[144:145], v[142:143]
	v_add_f64 v[142:143], v[142:143], v[54:55]
	s_waitcnt lgkmcnt(0)
	s_barrier
	buffer_gl0_inv
	v_mul_f64 v[200:201], v[44:45], s[12:13]
	v_add_f64 v[206:207], v[140:141], v[128:129]
	v_add_f64 v[144:145], v[144:145], v[130:131]
	v_fma_f64 v[202:203], v[146:147], s[14:15], v[200:201]
	v_fma_f64 v[200:201], v[146:147], s[14:15], -v[200:201]
	v_add_f64 v[144:145], v[144:145], v[124:125]
	v_add_f64 v[150:151], v[202:203], v[150:151]
	v_mul_f64 v[202:203], v[142:143], s[14:15]
	v_add_f64 v[158:159], v[200:201], v[158:159]
	v_add_f64 v[144:145], v[144:145], v[112:113]
	v_fma_f64 v[200:201], v[138:139], s[12:13], v[202:203]
	v_fma_f64 v[204:205], v[138:139], s[16:17], v[202:203]
	v_add_f64 v[144:145], v[144:145], v[108:109]
	v_add_f64 v[160:161], v[200:201], v[160:161]
	v_mul_f64 v[200:201], v[44:45], s[18:19]
	v_add_f64 v[166:167], v[204:205], v[166:167]
	v_add_f64 v[144:145], v[144:145], v[58:59]
	v_fma_f64 v[202:203], v[146:147], s[20:21], v[200:201]
	v_fma_f64 v[200:201], v[146:147], s[20:21], -v[200:201]
	v_add_f64 v[144:145], v[144:145], v[116:117]
	v_add_f64 v[168:169], v[202:203], v[168:169]
	v_mul_f64 v[202:203], v[142:143], s[20:21]
	v_add_f64 v[148:149], v[200:201], v[148:149]
	v_fma_f64 v[200:201], v[138:139], s[18:19], v[202:203]
	v_fma_f64 v[204:205], v[138:139], s[22:23], v[202:203]
	v_add_f64 v[162:163], v[200:201], v[162:163]
	v_mul_f64 v[200:201], v[44:45], s[38:39]
	v_add_f64 v[170:171], v[204:205], v[170:171]
	v_fma_f64 v[202:203], v[146:147], s[40:41], v[200:201]
	v_fma_f64 v[200:201], v[146:147], s[40:41], -v[200:201]
	v_add_f64 v[172:173], v[202:203], v[172:173]
	v_mul_f64 v[202:203], v[142:143], s[40:41]
	v_add_f64 v[52:53], v[200:201], v[52:53]
	v_fma_f64 v[200:201], v[138:139], s[38:39], v[202:203]
	v_fma_f64 v[204:205], v[138:139], s[42:43], v[202:203]
	v_add_f64 v[164:165], v[200:201], v[164:165]
	v_mul_f64 v[200:201], v[44:45], s[36:37]
	v_add_f64 v[174:175], v[204:205], v[174:175]
	v_fma_f64 v[202:203], v[146:147], s[34:35], v[200:201]
	v_fma_f64 v[200:201], v[146:147], s[34:35], -v[200:201]
	v_add_f64 v[188:189], v[202:203], v[188:189]
	v_mul_f64 v[202:203], v[142:143], s[34:35]
	v_add_f64 v[152:153], v[200:201], v[152:153]
	v_fma_f64 v[200:201], v[138:139], s[36:37], v[202:203]
	v_fma_f64 v[204:205], v[138:139], s[30:31], v[202:203]
	v_add_f64 v[154:155], v[200:201], v[154:155]
	v_mul_f64 v[200:201], v[44:45], s[6:7]
	v_mul_f64 v[44:45], v[44:45], s[28:29]
	v_add_f64 v[190:191], v[204:205], v[190:191]
	v_fma_f64 v[202:203], v[146:147], s[4:5], v[200:201]
	v_fma_f64 v[200:201], v[146:147], s[4:5], -v[200:201]
	v_add_f64 v[192:193], v[202:203], v[192:193]
	v_mul_f64 v[202:203], v[142:143], s[4:5]
	v_add_f64 v[200:201], v[200:201], v[56:57]
	v_fma_f64 v[56:57], v[138:139], s[6:7], v[202:203]
	v_fma_f64 v[204:205], v[138:139], s[0:1], v[202:203]
	v_add_f64 v[202:203], v[128:129], v[134:135]
	v_add_f64 v[156:157], v[56:57], v[156:157]
	v_fma_f64 v[56:57], v[146:147], s[26:27], v[44:45]
	v_fma_f64 v[44:45], v[146:147], s[26:27], -v[44:45]
	v_add_f64 v[194:195], v[204:205], v[194:195]
	v_add_f64 v[204:205], v[130:131], v[132:133]
	v_add_f64 v[196:197], v[56:57], v[196:197]
	v_mul_f64 v[56:57], v[142:143], s[26:27]
	v_add_f64 v[36:37], v[44:45], v[36:37]
	v_fma_f64 v[142:143], v[138:139], s[24:25], v[56:57]
	v_fma_f64 v[56:57], v[138:139], s[28:29], v[56:57]
	v_add_f64 v[146:147], v[142:143], v[198:199]
	v_add_f64 v[198:199], v[130:131], -v[132:133]
	v_add_f64 v[38:39], v[56:57], v[38:39]
	v_mul_f64 v[44:45], v[198:199], s[0:1]
	v_fma_f64 v[56:57], v[202:203], s[4:5], v[44:45]
	v_fma_f64 v[44:45], v[202:203], s[4:5], -v[44:45]
	v_add_f64 v[150:151], v[56:57], v[150:151]
	v_mul_f64 v[56:57], v[204:205], s[4:5]
	v_add_f64 v[158:159], v[44:45], v[158:159]
	v_fma_f64 v[44:45], v[208:209], s[0:1], v[56:57]
	v_fma_f64 v[128:129], v[208:209], s[6:7], v[56:57]
	v_add_f64 v[160:161], v[44:45], v[160:161]
	v_mul_f64 v[44:45], v[198:199], s[38:39]
	v_add_f64 v[166:167], v[128:129], v[166:167]
	v_fma_f64 v[56:57], v[202:203], s[40:41], v[44:45]
	v_fma_f64 v[44:45], v[202:203], s[40:41], -v[44:45]
	v_add_f64 v[168:169], v[56:57], v[168:169]
	v_mul_f64 v[56:57], v[204:205], s[40:41]
	v_add_f64 v[148:149], v[44:45], v[148:149]
	v_fma_f64 v[44:45], v[208:209], s[38:39], v[56:57]
	v_fma_f64 v[128:129], v[208:209], s[42:43], v[56:57]
	v_add_f64 v[162:163], v[44:45], v[162:163]
	v_mul_f64 v[44:45], v[198:199], s[22:23]
	v_add_f64 v[170:171], v[128:129], v[170:171]
	;; [unrolled: 10-line block ×3, first 2 shown]
	v_mul_f64 v[164:165], v[198:199], s[30:31]
	v_fma_f64 v[52:53], v[202:203], s[26:27], v[44:45]
	v_fma_f64 v[44:45], v[202:203], s[26:27], -v[44:45]
	v_add_f64 v[142:143], v[52:53], v[188:189]
	v_mul_f64 v[52:53], v[204:205], s[26:27]
	v_add_f64 v[128:129], v[44:45], v[152:153]
	v_mul_f64 v[152:153], v[198:199], s[12:13]
	v_mul_f64 v[188:189], v[204:205], s[34:35]
	v_fma_f64 v[44:45], v[208:209], s[28:29], v[52:53]
	v_fma_f64 v[56:57], v[208:209], s[24:25], v[52:53]
	v_add_f64 v[52:53], v[44:45], v[154:155]
	v_add_f64 v[154:155], v[144:145], v[136:137]
	v_add_f64 v[144:145], v[124:125], v[136:137]
	v_add_f64 v[136:137], v[124:125], -v[136:137]
	v_add_f64 v[124:125], v[206:207], v[122:123]
	v_fma_f64 v[44:45], v[202:203], s[14:15], v[152:153]
	v_fma_f64 v[152:153], v[202:203], s[14:15], -v[152:153]
	v_add_f64 v[56:57], v[56:57], v[190:191]
	v_add_f64 v[154:155], v[154:155], v[132:133]
	v_mul_f64 v[198:199], v[144:145], s[4:5]
	v_add_f64 v[124:125], v[124:125], v[110:111]
	v_add_f64 v[44:45], v[44:45], v[192:193]
	v_fma_f64 v[192:193], v[202:203], s[34:35], v[164:165]
	v_add_f64 v[54:55], v[154:155], v[54:55]
	v_mul_f64 v[154:155], v[136:137], s[28:29]
	v_add_f64 v[124:125], v[124:125], v[48:49]
	v_add_f64 v[192:193], v[192:193], v[196:197]
	v_mul_f64 v[196:197], v[144:145], s[34:35]
	v_add_f64 v[124:125], v[124:125], v[50:51]
	v_add_f64 v[124:125], v[124:125], v[114:115]
	;; [unrolled: 1-line block ×4, first 2 shown]
	v_mul_f64 v[124:125], v[204:205], s[14:15]
	v_add_f64 v[46:47], v[134:135], v[46:47]
	v_fma_f64 v[132:133], v[208:209], s[16:17], v[124:125]
	v_fma_f64 v[174:175], v[208:209], s[12:13], v[124:125]
	v_add_f64 v[124:125], v[152:153], v[200:201]
	v_fma_f64 v[152:153], v[208:209], s[36:37], v[188:189]
	v_fma_f64 v[188:189], v[208:209], s[30:31], v[188:189]
	v_add_f64 v[190:191], v[132:133], v[194:195]
	v_add_f64 v[132:133], v[174:175], v[156:157]
	v_fma_f64 v[156:157], v[202:203], s[34:35], -v[164:165]
	v_add_f64 v[164:165], v[122:123], v[126:127]
	v_add_f64 v[122:123], v[122:123], -v[126:127]
	v_mul_f64 v[126:127], v[136:137], s[18:19]
	v_mul_f64 v[174:175], v[144:145], s[20:21]
	;; [unrolled: 1-line block ×3, first 2 shown]
	v_add_f64 v[146:147], v[152:153], v[146:147]
	v_add_f64 v[188:189], v[188:189], v[38:39]
	v_add_f64 v[152:153], v[156:157], v[36:37]
	v_fma_f64 v[38:39], v[122:123], s[30:31], v[196:197]
	v_fma_f64 v[36:37], v[164:165], s[20:21], v[126:127]
	;; [unrolled: 1-line block ×3, first 2 shown]
	v_fma_f64 v[126:127], v[164:165], s[20:21], -v[126:127]
	v_fma_f64 v[174:175], v[122:123], s[18:19], v[174:175]
	v_fma_f64 v[134:135], v[164:165], s[34:35], v[194:195]
	v_add_f64 v[170:171], v[38:39], v[170:171]
	v_add_f64 v[150:151], v[36:37], v[150:151]
	;; [unrolled: 1-line block ×6, first 2 shown]
	v_fma_f64 v[158:159], v[164:165], s[34:35], -v[194:195]
	v_fma_f64 v[194:195], v[122:123], s[36:37], v[196:197]
	v_mul_f64 v[196:197], v[144:145], s[26:27]
	v_add_f64 v[160:161], v[174:175], v[160:161]
	v_mul_f64 v[174:175], v[136:137], s[0:1]
	v_add_f64 v[134:135], v[134:135], v[168:169]
	v_fma_f64 v[168:169], v[164:165], s[26:27], v[154:155]
	v_add_f64 v[38:39], v[54:55], v[118:119]
	v_add_f64 v[200:201], v[36:37], v[82:83]
	;; [unrolled: 1-line block ×6, first 2 shown]
	v_fma_f64 v[118:119], v[122:123], s[24:25], v[196:197]
	v_fma_f64 v[120:121], v[164:165], s[26:27], -v[154:155]
	v_fma_f64 v[148:149], v[122:123], s[28:29], v[196:197]
	v_fma_f64 v[154:155], v[164:165], s[4:5], v[174:175]
	v_mul_f64 v[158:159], v[136:137], s[42:43]
	v_mul_f64 v[162:163], v[144:145], s[40:41]
	v_add_f64 v[168:169], v[168:169], v[172:173]
	v_add_f64 v[172:173], v[112:113], -v[116:117]
	v_add_f64 v[112:113], v[112:113], v[116:117]
	v_fma_f64 v[116:117], v[122:123], s[6:7], v[198:199]
	v_fma_f64 v[174:175], v[164:165], s[4:5], -v[174:175]
	v_mul_f64 v[136:137], v[136:137], s[16:17]
	v_mul_f64 v[144:145], v[144:145], s[14:15]
	v_fma_f64 v[196:197], v[122:123], s[0:1], v[198:199]
	v_add_f64 v[198:199], v[108:109], v[58:59]
	v_add_f64 v[194:195], v[200:201], v[78:79]
	;; [unrolled: 1-line block ×7, first 2 shown]
	v_fma_f64 v[140:141], v[164:165], s[40:41], v[158:159]
	v_fma_f64 v[142:143], v[122:123], s[38:39], v[162:163]
	v_add_f64 v[148:149], v[110:111], v[114:115]
	v_add_f64 v[114:115], v[110:111], -v[114:115]
	v_mul_f64 v[154:155], v[112:113], s[34:35]
	v_add_f64 v[56:57], v[116:117], v[56:57]
	v_add_f64 v[116:117], v[174:175], v[128:129]
	v_fma_f64 v[128:129], v[164:165], s[40:41], -v[158:159]
	v_fma_f64 v[158:159], v[122:123], s[42:43], v[162:163]
	v_mul_f64 v[110:111], v[172:173], s[30:31]
	v_fma_f64 v[174:175], v[164:165], s[14:15], v[136:137]
	v_fma_f64 v[136:137], v[164:165], s[14:15], -v[136:137]
	v_mul_f64 v[164:165], v[172:173], s[6:7]
	v_add_f64 v[162:163], v[194:195], v[74:75]
	v_add_f64 v[166:167], v[166:167], v[76:77]
	v_fma_f64 v[194:195], v[122:123], s[12:13], v[144:145]
	v_fma_f64 v[122:123], v[122:123], s[16:17], v[144:145]
	v_mul_f64 v[144:145], v[172:173], s[12:13]
	v_add_f64 v[52:53], v[196:197], v[52:53]
	v_mul_f64 v[196:197], v[112:113], s[4:5]
	v_mul_f64 v[206:207], v[198:199], s[34:35]
	v_add_f64 v[44:45], v[140:141], v[44:45]
	v_add_f64 v[142:143], v[142:143], v[190:191]
	v_fma_f64 v[190:191], v[114:115], s[36:37], v[154:155]
	v_fma_f64 v[154:155], v[114:115], s[30:31], v[154:155]
	v_add_f64 v[124:125], v[128:129], v[124:125]
	v_add_f64 v[128:129], v[158:159], v[132:133]
	v_fma_f64 v[140:141], v[148:149], s[34:35], v[110:111]
	v_fma_f64 v[110:111], v[148:149], s[34:35], -v[110:111]
	v_add_f64 v[136:137], v[136:137], v[152:153]
	v_fma_f64 v[152:153], v[148:149], s[4:5], v[164:165]
	v_add_f64 v[132:133], v[162:163], v[70:71]
	v_add_f64 v[158:159], v[166:167], v[72:73]
	v_mul_f64 v[162:163], v[112:113], s[14:15]
	v_add_f64 v[146:147], v[194:195], v[146:147]
	v_fma_f64 v[164:165], v[148:149], s[4:5], -v[164:165]
	v_fma_f64 v[194:195], v[148:149], s[14:15], v[144:145]
	v_add_f64 v[188:189], v[122:123], v[188:189]
	v_mul_f64 v[122:123], v[172:173], s[42:43]
	v_add_f64 v[166:167], v[174:175], v[192:193]
	v_fma_f64 v[174:175], v[114:115], s[0:1], v[196:197]
	v_fma_f64 v[192:193], v[114:115], s[6:7], v[196:197]
	v_mul_f64 v[196:197], v[112:113], s[40:41]
	v_add_f64 v[156:157], v[190:191], v[156:157]
	v_add_f64 v[154:155], v[154:155], v[160:161]
	v_add_f64 v[160:161], v[108:109], -v[58:59]
	v_add_f64 v[150:151], v[140:141], v[150:151]
	v_add_f64 v[190:191], v[110:111], v[126:127]
	v_mul_f64 v[126:127], v[172:173], s[28:29]
	v_fma_f64 v[140:141], v[148:149], s[14:15], -v[144:145]
	v_add_f64 v[58:59], v[132:133], v[64:65]
	v_add_f64 v[108:109], v[158:159], v[66:67]
	v_fma_f64 v[110:111], v[114:115], s[16:17], v[162:163]
	v_mul_f64 v[132:133], v[112:113], s[26:27]
	v_add_f64 v[144:145], v[152:153], v[134:135]
	v_add_f64 v[158:159], v[164:165], v[46:47]
	;; [unrolled: 1-line block ×3, first 2 shown]
	v_fma_f64 v[46:47], v[114:115], s[12:13], v[162:163]
	v_fma_f64 v[134:135], v[148:149], s[40:41], v[122:123]
	v_mul_f64 v[168:169], v[172:173], s[18:19]
	v_mul_f64 v[112:113], v[112:113], s[20:21]
	v_fma_f64 v[122:123], v[148:149], s[40:41], -v[122:123]
	v_add_f64 v[152:153], v[174:175], v[170:171]
	v_add_f64 v[54:55], v[192:193], v[54:55]
	v_fma_f64 v[162:163], v[114:115], s[38:39], v[196:197]
	v_fma_f64 v[170:171], v[114:115], s[42:43], v[196:197]
	v_add_f64 v[172:173], v[48:49], v[50:51]
	v_add_f64 v[174:175], v[48:49], -v[50:51]
	v_mul_f64 v[48:49], v[160:161], s[38:39]
	v_mul_f64 v[50:51], v[198:199], s[40:41]
	;; [unrolled: 1-line block ×3, first 2 shown]
	v_add_f64 v[194:195], v[140:141], v[120:121]
	v_add_f64 v[58:59], v[58:59], v[68:69]
	;; [unrolled: 1-line block ×4, first 2 shown]
	v_fma_f64 v[110:111], v[148:149], s[26:27], v[126:127]
	v_fma_f64 v[192:193], v[114:115], s[24:25], v[132:133]
	v_fma_f64 v[120:121], v[148:149], s[26:27], -v[126:127]
	v_fma_f64 v[126:127], v[114:115], s[28:29], v[132:133]
	v_mul_f64 v[132:133], v[160:161], s[28:29]
	v_add_f64 v[200:201], v[46:47], v[130:131]
	v_add_f64 v[140:141], v[134:135], v[138:139]
	v_fma_f64 v[46:47], v[148:149], s[20:21], v[168:169]
	v_fma_f64 v[202:203], v[114:115], s[22:23], v[112:113]
	v_fma_f64 v[148:149], v[148:149], s[20:21], -v[168:169]
	v_add_f64 v[134:135], v[122:123], v[116:117]
	v_add_f64 v[138:139], v[162:163], v[56:57]
	;; [unrolled: 1-line block ×3, first 2 shown]
	v_mul_f64 v[204:205], v[160:161], s[30:31]
	v_fma_f64 v[112:113], v[114:115], s[18:19], v[112:113]
	v_fma_f64 v[52:53], v[172:173], s[40:41], v[48:49]
	;; [unrolled: 1-line block ×3, first 2 shown]
	v_fma_f64 v[162:163], v[172:173], s[40:41], -v[48:49]
	v_fma_f64 v[170:171], v[174:175], s[24:25], v[196:197]
	v_add_f64 v[58:59], v[58:59], v[88:89]
	v_add_f64 v[116:117], v[108:109], v[90:91]
	v_mul_f64 v[114:115], v[160:161], s[16:17]
	v_add_f64 v[108:109], v[110:111], v[44:45]
	v_add_f64 v[110:111], v[192:193], v[142:143]
	v_fma_f64 v[142:143], v[174:175], s[38:39], v[50:51]
	v_add_f64 v[122:123], v[126:127], v[128:129]
	v_fma_f64 v[168:169], v[172:173], s[26:27], v[132:133]
	v_fma_f64 v[192:193], v[172:173], s[26:27], -v[132:133]
	v_add_f64 v[132:133], v[106:107], -v[42:43]
	v_add_f64 v[106:107], v[106:107], v[42:43]
	v_add_f64 v[126:127], v[202:203], v[146:147]
	;; [unrolled: 1-line block ×3, first 2 shown]
	v_mul_f64 v[136:137], v[198:199], s[14:15]
	v_add_f64 v[120:121], v[120:121], v[124:125]
	v_add_f64 v[124:125], v[46:47], v[166:167]
	v_mul_f64 v[148:149], v[160:161], s[18:19]
	v_fma_f64 v[196:197], v[174:175], s[28:29], v[196:197]
	v_add_f64 v[48:49], v[52:53], v[150:151]
	v_add_f64 v[50:51], v[56:57], v[156:157]
	;; [unrolled: 1-line block ×3, first 2 shown]
	v_fma_f64 v[150:151], v[174:175], s[36:37], v[206:207]
	v_add_f64 v[146:147], v[58:59], v[92:93]
	v_add_f64 v[116:117], v[116:117], v[94:95]
	;; [unrolled: 1-line block ×3, first 2 shown]
	v_mul_f64 v[152:153], v[160:161], s[6:7]
	v_fma_f64 v[160:161], v[172:173], s[14:15], v[114:115]
	v_add_f64 v[46:47], v[142:143], v[154:155]
	v_mul_f64 v[142:143], v[198:199], s[20:21]
	v_add_f64 v[56:57], v[168:169], v[144:145]
	v_fma_f64 v[144:145], v[172:173], s[34:35], v[204:205]
	v_mul_f64 v[154:155], v[198:199], s[4:5]
	v_mul_f64 v[202:203], v[106:107], s[26:27]
	v_add_f64 v[52:53], v[192:193], v[158:159]
	v_fma_f64 v[156:157], v[172:173], s[34:35], -v[204:205]
	v_fma_f64 v[162:163], v[174:175], s[12:13], v[136:137]
	v_fma_f64 v[168:169], v[174:175], s[16:17], v[136:137]
	v_add_f64 v[136:137], v[104:105], v[40:41]
	v_add_f64 v[104:105], v[104:105], -v[40:41]
	v_fma_f64 v[158:159], v[174:175], s[30:31], v[206:207]
	v_fma_f64 v[166:167], v[172:173], s[14:15], -v[114:115]
	v_fma_f64 v[198:199], v[172:173], s[20:21], v[148:149]
	v_add_f64 v[206:207], v[112:113], v[188:189]
	v_fma_f64 v[148:149], v[172:173], s[20:21], -v[148:149]
	v_add_f64 v[146:147], v[146:147], v[96:97]
	v_add_f64 v[170:171], v[116:117], v[98:99]
	;; [unrolled: 1-line block ×5, first 2 shown]
	v_mul_f64 v[196:197], v[132:133], s[24:25]
	v_fma_f64 v[204:205], v[174:175], s[22:23], v[142:143]
	v_fma_f64 v[142:143], v[174:175], s[18:19], v[142:143]
	v_add_f64 v[112:113], v[144:145], v[164:165]
	v_fma_f64 v[144:145], v[172:173], s[4:5], v[152:153]
	v_fma_f64 v[150:151], v[174:175], s[0:1], v[154:155]
	v_fma_f64 v[152:153], v[172:173], s[4:5], -v[152:153]
	v_fma_f64 v[154:155], v[174:175], s[6:7], v[154:155]
	v_add_f64 v[190:191], v[162:163], v[138:139]
	v_add_f64 v[116:117], v[156:157], v[194:195]
	;; [unrolled: 1-line block ×3, first 2 shown]
	v_mul_f64 v[156:157], v[132:133], s[12:13]
	v_add_f64 v[118:119], v[158:159], v[200:201]
	v_mul_f64 v[158:159], v[106:107], s[14:15]
	v_add_f64 v[192:193], v[166:167], v[134:135]
	v_add_f64 v[108:109], v[198:199], v[108:109]
	v_add_f64 v[120:121], v[148:149], v[120:121]
	v_add_f64 v[138:139], v[146:147], v[100:101]
	v_add_f64 v[140:141], v[170:171], v[102:103]
	v_fma_f64 v[146:147], v[104:105], s[28:29], v[202:203]
	v_mul_f64 v[148:149], v[106:107], s[4:5]
	v_fma_f64 v[134:135], v[136:137], s[26:27], v[196:197]
	v_add_f64 v[110:111], v[204:205], v[110:111]
	v_add_f64 v[122:123], v[142:143], v[122:123]
	v_mul_f64 v[142:143], v[132:133], s[0:1]
	v_add_f64 v[124:125], v[144:145], v[124:125]
	v_add_f64 v[126:127], v[150:151], v[126:127]
	v_mul_f64 v[144:145], v[132:133], s[18:19]
	v_mul_f64 v[150:151], v[106:107], s[20:21]
	v_add_f64 v[128:129], v[152:153], v[128:129]
	v_add_f64 v[130:131], v[154:155], v[206:207]
	v_mul_f64 v[152:153], v[132:133], s[30:31]
	v_mul_f64 v[154:155], v[106:107], s[34:35]
	;; [unrolled: 1-line block ×4, first 2 shown]
	v_fma_f64 v[160:161], v[136:137], s[14:15], v[156:157]
	v_fma_f64 v[162:163], v[104:105], s[16:17], v[158:159]
	v_fma_f64 v[156:157], v[136:137], s[14:15], -v[156:157]
	v_add_f64 v[40:41], v[138:139], v[40:41]
	v_add_f64 v[42:43], v[140:141], v[42:43]
	;; [unrolled: 1-line block ×3, first 2 shown]
	v_fma_f64 v[146:147], v[104:105], s[24:25], v[202:203]
	v_fma_f64 v[138:139], v[136:137], s[26:27], -v[196:197]
	v_fma_f64 v[158:159], v[104:105], s[12:13], v[158:159]
	v_fma_f64 v[166:167], v[104:105], s[6:7], v[148:149]
	;; [unrolled: 1-line block ×4, first 2 shown]
	v_fma_f64 v[142:143], v[136:137], s[4:5], -v[142:143]
	v_add_f64 v[134:135], v[60:61], v[134:135]
	v_fma_f64 v[168:169], v[136:137], s[20:21], v[144:145]
	v_fma_f64 v[170:171], v[104:105], s[22:23], v[150:151]
	v_fma_f64 v[144:145], v[136:137], s[20:21], -v[144:145]
	v_fma_f64 v[150:151], v[104:105], s[18:19], v[150:151]
	v_fma_f64 v[172:173], v[136:137], s[34:35], v[152:153]
	v_fma_f64 v[174:175], v[104:105], s[36:37], v[154:155]
	v_fma_f64 v[152:153], v[136:137], s[34:35], -v[152:153]
	v_fma_f64 v[154:155], v[104:105], s[30:31], v[154:155]
	v_fma_f64 v[196:197], v[136:137], s[40:41], v[132:133]
	v_fma_f64 v[132:133], v[136:137], s[40:41], -v[132:133]
	v_fma_f64 v[136:137], v[104:105], s[42:43], v[106:107]
	v_fma_f64 v[104:105], v[104:105], s[38:39], v[106:107]
	v_add_f64 v[160:161], v[60:61], v[160:161]
	v_add_f64 v[162:163], v[62:63], v[162:163]
	;; [unrolled: 1-line block ×3, first 2 shown]
	v_add_f64 v[146:147], v[84:85], -v[102:103]
	v_add_f64 v[138:139], v[60:61], v[138:139]
	v_add_f64 v[156:157], v[60:61], v[156:157]
	;; [unrolled: 1-line block ×21, first 2 shown]
	v_mul_f64 v[132:133], v[146:147], s[12:13]
	v_add_f64 v[82:83], v[82:83], -v[100:101]
	v_mul_f64 v[102:103], v[84:85], s[14:15]
	v_fma_f64 v[100:101], v[104:105], s[14:15], v[132:133]
	v_fma_f64 v[132:133], v[104:105], s[14:15], -v[132:133]
	v_add_f64 v[100:101], v[100:101], v[134:135]
	v_fma_f64 v[134:135], v[82:83], s[16:17], v[102:103]
	v_fma_f64 v[102:103], v[82:83], s[12:13], v[102:103]
	v_add_f64 v[132:133], v[132:133], v[138:139]
	v_mul_f64 v[138:139], v[84:85], s[20:21]
	v_add_f64 v[134:135], v[134:135], v[140:141]
	v_mul_f64 v[140:141], v[146:147], s[18:19]
	v_add_f64 v[102:103], v[102:103], v[106:107]
	v_fma_f64 v[106:107], v[104:105], s[20:21], v[140:141]
	v_fma_f64 v[140:141], v[104:105], s[20:21], -v[140:141]
	v_add_f64 v[106:107], v[106:107], v[160:161]
	v_fma_f64 v[160:161], v[82:83], s[22:23], v[138:139]
	v_fma_f64 v[138:139], v[82:83], s[18:19], v[138:139]
	v_add_f64 v[140:141], v[140:141], v[156:157]
	v_add_f64 v[160:161], v[160:161], v[162:163]
	v_mul_f64 v[162:163], v[146:147], s[38:39]
	v_add_f64 v[138:139], v[138:139], v[158:159]
	v_mul_f64 v[158:159], v[84:85], s[40:41]
	v_fma_f64 v[156:157], v[104:105], s[40:41], v[162:163]
	v_fma_f64 v[162:163], v[104:105], s[40:41], -v[162:163]
	v_add_f64 v[156:157], v[156:157], v[164:165]
	v_fma_f64 v[164:165], v[82:83], s[42:43], v[158:159]
	v_fma_f64 v[158:159], v[82:83], s[38:39], v[158:159]
	v_add_f64 v[142:143], v[162:163], v[142:143]
	v_mul_f64 v[162:163], v[84:85], s[34:35]
	v_add_f64 v[164:165], v[164:165], v[166:167]
	v_mul_f64 v[166:167], v[146:147], s[36:37]
	v_add_f64 v[148:149], v[158:159], v[148:149]
	v_fma_f64 v[158:159], v[104:105], s[34:35], v[166:167]
	v_fma_f64 v[166:167], v[104:105], s[34:35], -v[166:167]
	v_add_f64 v[158:159], v[158:159], v[168:169]
	v_fma_f64 v[168:169], v[82:83], s[30:31], v[162:163]
	v_fma_f64 v[162:163], v[82:83], s[36:37], v[162:163]
	v_add_f64 v[144:145], v[166:167], v[144:145]
	v_add_f64 v[168:169], v[168:169], v[170:171]
	v_mul_f64 v[170:171], v[146:147], s[6:7]
	v_add_f64 v[150:151], v[162:163], v[150:151]
	v_mul_f64 v[162:163], v[84:85], s[4:5]
	v_mul_f64 v[146:147], v[146:147], s[28:29]
	;; [unrolled: 1-line block ×3, first 2 shown]
	v_fma_f64 v[166:167], v[104:105], s[4:5], v[170:171]
	v_fma_f64 v[170:171], v[104:105], s[4:5], -v[170:171]
	v_add_f64 v[166:167], v[166:167], v[172:173]
	v_add_f64 v[172:173], v[80:81], v[98:99]
	v_add_f64 v[80:81], v[80:81], -v[98:99]
	v_fma_f64 v[98:99], v[82:83], s[0:1], v[162:163]
	v_fma_f64 v[162:163], v[82:83], s[6:7], v[162:163]
	v_add_f64 v[152:153], v[170:171], v[152:153]
	v_fma_f64 v[170:171], v[82:83], s[24:25], v[84:85]
	v_fma_f64 v[82:83], v[82:83], s[28:29], v[84:85]
	v_add_f64 v[98:99], v[98:99], v[174:175]
	v_add_f64 v[154:155], v[162:163], v[154:155]
	v_fma_f64 v[162:163], v[104:105], s[26:27], v[146:147]
	v_fma_f64 v[104:105], v[104:105], s[26:27], -v[146:147]
	v_add_f64 v[146:147], v[78:79], v[96:97]
	v_add_f64 v[78:79], v[78:79], -v[96:97]
	v_mul_f64 v[96:97], v[80:81], s[0:1]
	v_mul_f64 v[174:175], v[172:173], s[4:5]
	v_add_f64 v[136:137], v[170:171], v[136:137]
	v_add_f64 v[62:63], v[82:83], v[62:63]
	;; [unrolled: 1-line block ×4, first 2 shown]
	v_mul_f64 v[104:105], v[80:81], s[38:39]
	v_mul_f64 v[196:197], v[172:173], s[40:41]
	v_fma_f64 v[84:85], v[146:147], s[4:5], v[96:97]
	v_fma_f64 v[170:171], v[78:79], s[6:7], v[174:175]
	v_fma_f64 v[96:97], v[146:147], s[4:5], -v[96:97]
	v_add_f64 v[82:83], v[84:85], v[100:101]
	v_fma_f64 v[100:101], v[78:79], s[0:1], v[174:175]
	v_add_f64 v[84:85], v[170:171], v[134:135]
	v_add_f64 v[96:97], v[96:97], v[132:133]
	v_fma_f64 v[132:133], v[146:147], s[40:41], v[104:105]
	v_fma_f64 v[134:135], v[78:79], s[42:43], v[196:197]
	v_fma_f64 v[104:105], v[146:147], s[40:41], -v[104:105]
	v_mul_f64 v[170:171], v[80:81], s[22:23]
	v_mul_f64 v[174:175], v[172:173], s[20:21]
	v_add_f64 v[100:101], v[100:101], v[102:103]
	v_fma_f64 v[102:103], v[78:79], s[38:39], v[196:197]
	v_mul_f64 v[196:197], v[172:173], s[26:27]
	v_add_f64 v[106:107], v[132:133], v[106:107]
	v_add_f64 v[132:133], v[134:135], v[160:161]
	v_add_f64 v[104:105], v[104:105], v[140:141]
	v_fma_f64 v[134:135], v[146:147], s[20:21], v[170:171]
	v_fma_f64 v[140:141], v[78:79], s[18:19], v[174:175]
	v_fma_f64 v[160:161], v[146:147], s[20:21], -v[170:171]
	v_mul_f64 v[170:171], v[80:81], s[28:29]
	v_fma_f64 v[174:175], v[78:79], s[22:23], v[174:175]
	v_add_f64 v[102:103], v[102:103], v[138:139]
	v_mul_f64 v[138:139], v[80:81], s[12:13]
	v_mul_f64 v[80:81], v[80:81], s[30:31]
	v_add_f64 v[134:135], v[134:135], v[156:157]
	v_add_f64 v[140:141], v[140:141], v[164:165]
	;; [unrolled: 1-line block ×3, first 2 shown]
	v_fma_f64 v[156:157], v[146:147], s[26:27], v[170:171]
	v_fma_f64 v[160:161], v[78:79], s[24:25], v[196:197]
	v_fma_f64 v[164:165], v[146:147], s[26:27], -v[170:171]
	v_add_f64 v[170:171], v[76:77], v[94:95]
	v_add_f64 v[76:77], v[76:77], -v[94:95]
	v_mul_f64 v[94:95], v[172:173], s[14:15]
	v_add_f64 v[148:149], v[174:175], v[148:149]
	v_fma_f64 v[174:175], v[78:79], s[28:29], v[196:197]
	v_mul_f64 v[172:173], v[172:173], s[34:35]
	v_fma_f64 v[196:197], v[146:147], s[14:15], v[138:139]
	v_fma_f64 v[138:139], v[146:147], s[14:15], -v[138:139]
	v_add_f64 v[156:157], v[156:157], v[158:159]
	v_add_f64 v[158:159], v[160:161], v[168:169]
	;; [unrolled: 1-line block ×4, first 2 shown]
	v_mul_f64 v[168:169], v[76:77], s[18:19]
	v_fma_f64 v[160:161], v[78:79], s[16:17], v[94:95]
	v_fma_f64 v[94:95], v[78:79], s[12:13], v[94:95]
	v_add_f64 v[74:75], v[74:75], -v[92:93]
	v_mul_f64 v[92:93], v[170:171], s[20:21]
	v_add_f64 v[150:151], v[174:175], v[150:151]
	v_fma_f64 v[174:175], v[146:147], s[34:35], v[80:81]
	v_fma_f64 v[80:81], v[146:147], s[34:35], -v[80:81]
	v_mul_f64 v[146:147], v[76:77], s[36:37]
	v_add_f64 v[166:167], v[196:197], v[166:167]
	v_fma_f64 v[196:197], v[78:79], s[36:37], v[172:173]
	v_fma_f64 v[78:79], v[78:79], s[30:31], v[172:173]
	v_mul_f64 v[172:173], v[170:171], s[34:35]
	v_add_f64 v[138:139], v[138:139], v[152:153]
	v_add_f64 v[98:99], v[160:161], v[98:99]
	v_fma_f64 v[160:161], v[164:165], s[20:21], v[168:169]
	v_add_f64 v[94:95], v[94:95], v[154:155]
	v_mul_f64 v[154:155], v[76:77], s[28:29]
	v_fma_f64 v[168:169], v[164:165], s[20:21], -v[168:169]
	v_fma_f64 v[152:153], v[74:75], s[22:23], v[92:93]
	v_add_f64 v[162:163], v[174:175], v[162:163]
	v_fma_f64 v[92:93], v[74:75], s[18:19], v[92:93]
	v_mul_f64 v[174:175], v[170:171], s[26:27]
	v_add_f64 v[60:61], v[80:81], v[60:61]
	v_mul_f64 v[80:81], v[76:77], s[0:1]
	v_add_f64 v[136:137], v[196:197], v[136:137]
	v_fma_f64 v[196:197], v[164:165], s[34:35], v[146:147]
	v_add_f64 v[62:63], v[78:79], v[62:63]
	v_fma_f64 v[78:79], v[74:75], s[30:31], v[172:173]
	v_fma_f64 v[146:147], v[164:165], s[34:35], -v[146:147]
	v_add_f64 v[82:83], v[160:161], v[82:83]
	v_fma_f64 v[160:161], v[164:165], s[26:27], v[154:155]
	v_add_f64 v[96:97], v[168:169], v[96:97]
	v_add_f64 v[168:169], v[72:73], -v[90:91]
	v_add_f64 v[72:73], v[72:73], v[90:91]
	v_add_f64 v[84:85], v[152:153], v[84:85]
	v_fma_f64 v[152:153], v[74:75], s[36:37], v[172:173]
	v_mul_f64 v[172:173], v[170:171], s[4:5]
	v_add_f64 v[90:91], v[92:93], v[100:101]
	v_fma_f64 v[92:93], v[74:75], s[24:25], v[174:175]
	v_add_f64 v[100:101], v[196:197], v[106:107]
	v_mul_f64 v[106:107], v[76:77], s[42:43]
	v_fma_f64 v[154:155], v[164:165], s[26:27], -v[154:155]
	v_mul_f64 v[196:197], v[170:171], s[40:41]
	v_fma_f64 v[174:175], v[74:75], s[28:29], v[174:175]
	v_add_f64 v[78:79], v[78:79], v[132:133]
	v_fma_f64 v[132:133], v[164:165], s[4:5], v[80:81]
	v_mul_f64 v[76:77], v[76:77], s[16:17]
	v_add_f64 v[104:105], v[146:147], v[104:105]
	v_mul_f64 v[146:147], v[170:171], s[14:15]
	v_fma_f64 v[80:81], v[164:165], s[4:5], -v[80:81]
	v_add_f64 v[134:135], v[160:161], v[134:135]
	v_add_f64 v[160:161], v[70:71], v[88:89]
	v_add_f64 v[70:71], v[70:71], -v[88:89]
	v_mul_f64 v[88:89], v[168:169], s[30:31]
	v_mul_f64 v[170:171], v[72:73], s[34:35]
	v_add_f64 v[102:103], v[152:153], v[102:103]
	v_fma_f64 v[152:153], v[74:75], s[6:7], v[172:173]
	v_add_f64 v[92:93], v[92:93], v[140:141]
	v_fma_f64 v[140:141], v[74:75], s[0:1], v[172:173]
	v_fma_f64 v[172:173], v[164:165], s[40:41], v[106:107]
	v_add_f64 v[142:143], v[154:155], v[142:143]
	v_fma_f64 v[154:155], v[74:75], s[38:39], v[196:197]
	v_add_f64 v[148:149], v[174:175], v[148:149]
	v_mul_f64 v[174:175], v[168:169], s[6:7]
	v_add_f64 v[132:133], v[132:133], v[156:157]
	v_fma_f64 v[106:107], v[164:165], s[40:41], -v[106:107]
	v_fma_f64 v[156:157], v[74:75], s[42:43], v[196:197]
	v_fma_f64 v[196:197], v[164:165], s[14:15], v[76:77]
	v_fma_f64 v[76:77], v[164:165], s[14:15], -v[76:77]
	v_fma_f64 v[164:165], v[74:75], s[12:13], v[146:147]
	v_fma_f64 v[74:75], v[74:75], s[16:17], v[146:147]
	v_add_f64 v[80:81], v[80:81], v[144:145]
	v_fma_f64 v[144:145], v[160:161], s[34:35], v[88:89]
	v_fma_f64 v[146:147], v[70:71], s[36:37], v[170:171]
	v_fma_f64 v[88:89], v[160:161], s[34:35], -v[88:89]
	v_add_f64 v[152:153], v[152:153], v[158:159]
	v_mul_f64 v[158:159], v[72:73], s[4:5]
	v_add_f64 v[140:141], v[140:141], v[150:151]
	v_add_f64 v[150:151], v[172:173], v[166:167]
	v_mul_f64 v[172:173], v[72:73], s[14:15]
	v_add_f64 v[98:99], v[154:155], v[98:99]
	v_fma_f64 v[154:155], v[70:71], s[30:31], v[170:171]
	v_mul_f64 v[170:171], v[168:169], s[12:13]
	v_fma_f64 v[166:167], v[160:161], s[4:5], v[174:175]
	v_add_f64 v[106:107], v[106:107], v[138:139]
	v_add_f64 v[94:95], v[156:157], v[94:95]
	;; [unrolled: 1-line block ×3, first 2 shown]
	v_mul_f64 v[156:157], v[168:169], s[42:43]
	v_mul_f64 v[162:163], v[72:73], s[40:41]
	v_add_f64 v[60:61], v[76:77], v[60:61]
	v_add_f64 v[76:77], v[66:67], -v[86:87]
	v_add_f64 v[62:63], v[74:75], v[62:63]
	v_add_f64 v[66:67], v[66:67], v[86:87]
	;; [unrolled: 1-line block ×4, first 2 shown]
	v_fma_f64 v[86:87], v[160:161], s[4:5], -v[174:175]
	v_mul_f64 v[146:147], v[72:73], s[26:27]
	v_fma_f64 v[84:85], v[70:71], s[0:1], v[158:159]
	v_mul_f64 v[144:145], v[168:169], s[28:29]
	v_add_f64 v[88:89], v[88:89], v[96:97]
	v_fma_f64 v[96:97], v[70:71], s[6:7], v[158:159]
	v_add_f64 v[136:137], v[164:165], v[136:137]
	v_mul_f64 v[164:165], v[168:169], s[18:19]
	v_add_f64 v[90:91], v[154:155], v[90:91]
	v_fma_f64 v[154:155], v[160:161], s[14:15], v[170:171]
	v_fma_f64 v[158:159], v[70:71], s[16:17], v[172:173]
	v_mul_f64 v[72:73], v[72:73], s[20:21]
	v_add_f64 v[100:101], v[166:167], v[100:101]
	v_fma_f64 v[166:167], v[160:161], s[14:15], -v[170:171]
	v_fma_f64 v[168:169], v[70:71], s[12:13], v[172:173]
	v_fma_f64 v[170:171], v[160:161], s[40:41], v[156:157]
	;; [unrolled: 1-line block ×3, first 2 shown]
	v_add_f64 v[174:175], v[64:65], v[68:69]
	v_mul_f64 v[196:197], v[76:77], s[38:39]
	v_fma_f64 v[156:157], v[160:161], s[40:41], -v[156:157]
	v_fma_f64 v[162:163], v[70:71], s[42:43], v[162:163]
	v_add_f64 v[64:65], v[64:65], -v[68:69]
	v_mul_f64 v[68:69], v[66:67], s[40:41]
	v_add_f64 v[86:87], v[86:87], v[104:105]
	v_fma_f64 v[104:105], v[70:71], s[24:25], v[146:147]
	v_add_f64 v[84:85], v[84:85], v[78:79]
	v_fma_f64 v[78:79], v[160:161], s[26:27], v[144:145]
	v_add_f64 v[96:97], v[96:97], v[102:103]
	v_fma_f64 v[102:103], v[160:161], s[26:27], -v[144:145]
	v_fma_f64 v[144:145], v[70:71], s[28:29], v[146:147]
	v_fma_f64 v[146:147], v[160:161], s[20:21], v[164:165]
	v_add_f64 v[134:135], v[154:155], v[134:135]
	v_add_f64 v[92:93], v[158:159], v[92:93]
	v_fma_f64 v[154:155], v[70:71], s[22:23], v[72:73]
	v_fma_f64 v[158:159], v[160:161], s[20:21], -v[164:165]
	v_fma_f64 v[70:71], v[70:71], s[18:19], v[72:73]
	v_add_f64 v[142:143], v[166:167], v[142:143]
	v_add_f64 v[72:73], v[170:171], v[132:133]
	;; [unrolled: 1-line block ×4, first 2 shown]
	v_fma_f64 v[132:133], v[174:175], s[40:41], v[196:197]
	v_add_f64 v[80:81], v[156:157], v[80:81]
	v_add_f64 v[140:141], v[162:163], v[140:141]
	v_mul_f64 v[156:157], v[76:77], s[28:29]
	v_mul_f64 v[162:163], v[66:67], s[26:27]
	v_fma_f64 v[160:161], v[64:65], s[42:43], v[68:69]
	v_add_f64 v[164:165], v[104:105], v[98:99]
	v_mul_f64 v[98:99], v[76:77], s[30:31]
	v_mul_f64 v[104:105], v[66:67], s[34:35]
	v_add_f64 v[150:151], v[78:79], v[150:151]
	v_add_f64 v[166:167], v[102:103], v[106:107]
	;; [unrolled: 1-line block ×3, first 2 shown]
	v_mul_f64 v[94:95], v[76:77], s[16:17]
	v_mul_f64 v[102:103], v[66:67], s[14:15]
	v_add_f64 v[138:139], v[146:147], v[138:139]
	v_mul_f64 v[106:107], v[76:77], s[18:19]
	v_mul_f64 v[146:147], v[66:67], s[20:21]
	v_add_f64 v[136:137], v[154:155], v[136:137]
	v_add_f64 v[154:155], v[158:159], v[60:61]
	;; [unrolled: 1-line block ×3, first 2 shown]
	v_mul_f64 v[60:61], v[76:77], s[6:7]
	v_mul_f64 v[62:63], v[66:67], s[4:5]
	v_add_f64 v[76:77], v[132:133], v[74:75]
	v_fma_f64 v[66:67], v[174:175], s[40:41], -v[196:197]
	v_fma_f64 v[68:69], v[64:65], s[38:39], v[68:69]
	v_fma_f64 v[70:71], v[174:175], s[26:27], v[156:157]
	;; [unrolled: 1-line block ×3, first 2 shown]
	v_add_f64 v[78:79], v[160:161], v[82:83]
	v_fma_f64 v[82:83], v[174:175], s[26:27], -v[156:157]
	v_fma_f64 v[156:157], v[174:175], s[34:35], v[98:99]
	v_fma_f64 v[160:161], v[64:65], s[36:37], v[104:105]
	;; [unrolled: 1-line block ×3, first 2 shown]
	v_fma_f64 v[98:99], v[174:175], s[34:35], -v[98:99]
	v_fma_f64 v[162:163], v[64:65], s[30:31], v[104:105]
	v_fma_f64 v[168:169], v[174:175], s[14:15], v[94:95]
	v_fma_f64 v[170:171], v[64:65], s[12:13], v[102:103]
	v_fma_f64 v[94:95], v[174:175], s[14:15], -v[94:95]
	v_fma_f64 v[196:197], v[174:175], s[20:21], v[106:107]
	v_fma_f64 v[198:199], v[64:65], s[22:23], v[146:147]
	v_fma_f64 v[200:201], v[174:175], s[20:21], -v[106:107]
	v_fma_f64 v[146:147], v[64:65], s[18:19], v[146:147]
	v_fma_f64 v[172:173], v[64:65], s[16:17], v[102:103]
	;; [unrolled: 1-line block ×4, first 2 shown]
	v_fma_f64 v[174:175], v[174:175], s[4:5], -v[60:61]
	v_fma_f64 v[206:207], v[64:65], s[6:7], v[62:63]
	v_add_f64 v[60:61], v[66:67], v[88:89]
	v_add_f64 v[104:105], v[70:71], v[100:101]
	;; [unrolled: 1-line block ×22, first 2 shown]
	ds_write_b128 v243, v[36:39]
	ds_write_b128 v243, v[48:51] offset:32
	ds_write_b128 v243, v[56:59] offset:64
	;; [unrolled: 1-line block ×12, first 2 shown]
	ds_write_b128 v241, v[40:43]
	ds_write_b128 v241, v[76:79] offset:32
	ds_write_b128 v241, v[104:107] offset:64
	;; [unrolled: 1-line block ×12, first 2 shown]
	s_waitcnt lgkmcnt(0)
	s_barrier
	buffer_gl0_inv
	ds_read_b128 v[36:39], v252 offset:1664
	ds_read_b128 v[48:51], v252 offset:3328
	;; [unrolled: 1-line block ×3, first 2 shown]
	s_clause 0x3
	buffer_load_dword v58, off, s[52:55], 0 offset:772
	buffer_load_dword v59, off, s[52:55], 0 offset:776
	buffer_load_dword v60, off, s[52:55], 0 offset:780
	buffer_load_dword v61, off, s[52:55], 0 offset:784
	s_waitcnt vmcnt(0) lgkmcnt(2)
	v_mul_f64 v[40:41], v[60:61], v[38:39]
	v_mul_f64 v[42:43], v[60:61], v[36:37]
	ds_read_b128 v[60:63], v252 offset:4160
	s_clause 0x3
	buffer_load_dword v70, off, s[52:55], 0 offset:852
	buffer_load_dword v71, off, s[52:55], 0 offset:856
	;; [unrolled: 1-line block ×4, first 2 shown]
	ds_read_b128 v[54:57], v252 offset:4992
	v_fma_f64 v[118:119], v[58:59], v[36:37], v[40:41]
	v_fma_f64 v[92:93], v[58:59], v[38:39], -v[42:43]
	ds_read_b128 v[40:43], v252
	ds_read_b128 v[36:39], v252 offset:832
	ds_read_b128 v[64:67], v252 offset:5824
	;; [unrolled: 1-line block ×6, first 2 shown]
	s_waitcnt lgkmcnt(6)
	v_add_f64 v[76:77], v[40:41], v[118:119]
	v_add_f64 v[78:79], v[42:43], v[92:93]
	s_waitcnt vmcnt(0)
	v_mul_f64 v[52:53], v[72:73], v[50:51]
	v_mul_f64 v[68:69], v[72:73], v[48:49]
	ds_read_b128 v[72:75], v252 offset:8320
	v_fma_f64 v[58:59], v[70:71], v[48:49], v[52:53]
	v_mul_f64 v[52:53], v[34:35], v[56:57]
	v_fma_f64 v[100:101], v[70:71], v[50:51], -v[68:69]
	ds_read_b128 v[48:51], v252 offset:6656
	ds_read_b128 v[68:71], v252 offset:7488
	v_mul_f64 v[34:35], v[34:35], v[54:55]
	v_add_f64 v[76:77], v[76:77], v[58:59]
	s_waitcnt lgkmcnt(1)
	v_mul_f64 v[84:85], v[26:27], v[50:51]
	v_mul_f64 v[26:27], v[26:27], v[48:49]
	v_fma_f64 v[54:55], v[32:33], v[54:55], v[52:53]
	v_fma_f64 v[56:57], v[32:33], v[56:57], -v[34:35]
	v_add_f64 v[32:33], v[78:79], v[100:101]
	v_mul_f64 v[78:79], v[22:23], v[74:75]
	v_mul_f64 v[22:23], v[22:23], v[72:73]
	v_fma_f64 v[34:35], v[24:25], v[48:49], v[84:85]
	v_fma_f64 v[52:53], v[24:25], v[50:51], -v[26:27]
	v_add_f64 v[24:25], v[76:77], v[54:55]
	ds_read_b128 v[48:51], v252 offset:9984
	v_add_f64 v[84:85], v[32:33], v[56:57]
	v_fma_f64 v[26:27], v[20:21], v[72:73], v[78:79]
	ds_read_b128 v[76:79], v252 offset:11648
	v_fma_f64 v[32:33], v[20:21], v[74:75], -v[22:23]
	s_waitcnt lgkmcnt(1)
	v_mul_f64 v[72:73], v[10:11], v[50:51]
	v_mul_f64 v[86:87], v[10:11], v[48:49]
	v_add_f64 v[24:25], v[24:25], v[34:35]
	s_waitcnt lgkmcnt(0)
	v_mul_f64 v[74:75], v[30:31], v[78:79]
	v_mul_f64 v[30:31], v[30:31], v[76:77]
	v_add_f64 v[20:21], v[84:85], v[52:53]
	v_fma_f64 v[10:11], v[8:9], v[48:49], v[72:73]
	v_fma_f64 v[22:23], v[8:9], v[50:51], -v[86:87]
	v_add_f64 v[72:73], v[24:25], v[26:27]
	ds_read_b128 v[48:51], v252 offset:13312
	v_fma_f64 v[8:9], v[28:29], v[76:77], v[74:75]
	v_fma_f64 v[24:25], v[28:29], v[78:79], -v[30:31]
	ds_read_b128 v[28:31], v252 offset:14976
	s_clause 0x3
	buffer_load_dword v16, off, s[52:55], 0 offset:1124
	buffer_load_dword v17, off, s[52:55], 0 offset:1128
	;; [unrolled: 1-line block ×4, first 2 shown]
	v_add_f64 v[20:21], v[20:21], v[32:33]
	v_add_f64 v[110:111], v[72:73], v[10:11]
	ds_read_b128 v[72:75], v252 offset:19968
	ds_read_b128 v[76:79], v252 offset:16640
	;; [unrolled: 1-line block ×3, first 2 shown]
	s_waitcnt lgkmcnt(3)
	v_mul_f64 v[120:121], v[14:15], v[30:31]
	v_mul_f64 v[122:123], v[14:15], v[28:29]
	ds_read_b128 v[84:87], v252 offset:18304
	v_add_f64 v[20:21], v[20:21], v[22:23]
	s_waitcnt lgkmcnt(3)
	v_mul_f64 v[124:125], v[6:7], v[72:73]
	v_add_f64 v[20:21], v[20:21], v[24:25]
	v_fma_f64 v[124:125], v[4:5], v[74:75], -v[124:125]
	s_waitcnt vmcnt(0)
	v_mul_f64 v[94:95], v[18:19], v[50:51]
	v_mul_f64 v[18:19], v[18:19], v[48:49]
	v_fma_f64 v[14:15], v[16:17], v[48:49], v[94:95]
	v_fma_f64 v[16:17], v[16:17], v[50:51], -v[18:19]
	ds_read_b128 v[48:51], v252 offset:20800
	v_add_f64 v[94:95], v[110:111], v[8:9]
	ds_read_b128 v[110:113], v252 offset:17472
	ds_read_b128 v[114:117], v252 offset:19136
	s_clause 0xb
	buffer_load_dword v140, off, s[52:55], 0 offset:820
	buffer_load_dword v141, off, s[52:55], 0 offset:824
	;; [unrolled: 1-line block ×12, first 2 shown]
	v_fma_f64 v[18:19], v[12:13], v[28:29], v[120:121]
	v_fma_f64 v[28:29], v[12:13], v[30:31], -v[122:123]
	v_mul_f64 v[122:123], v[6:7], v[74:75]
	v_mul_f64 v[74:75], v[2:3], v[46:47]
	;; [unrolled: 1-line block ×3, first 2 shown]
	v_add_f64 v[20:21], v[20:21], v[16:17]
	v_add_f64 v[94:95], v[94:95], v[14:15]
	v_fma_f64 v[4:5], v[4:5], v[72:73], v[122:123]
	s_waitcnt vmcnt(8) lgkmcnt(5)
	v_mul_f64 v[12:13], v[142:143], v[78:79]
	s_waitcnt vmcnt(4) lgkmcnt(3)
	v_mul_f64 v[120:121], v[146:147], v[86:87]
	v_mul_f64 v[126:127], v[146:147], v[84:85]
	s_waitcnt vmcnt(0)
	v_mul_f64 v[128:129], v[152:153], v[62:63]
	v_mul_f64 v[130:131], v[152:153], v[60:61]
	s_clause 0x7
	buffer_load_dword v152, off, s[52:55], 0 offset:868
	buffer_load_dword v153, off, s[52:55], 0 offset:872
	;; [unrolled: 1-line block ×8, first 2 shown]
	v_mul_f64 v[30:31], v[142:143], v[76:77]
	v_add_f64 v[142:143], v[20:21], v[28:29]
	v_fma_f64 v[20:21], v[0:1], v[44:45], v[74:75]
	v_fma_f64 v[6:7], v[140:141], v[76:77], v[12:13]
	;; [unrolled: 1-line block ×3, first 2 shown]
	v_fma_f64 v[122:123], v[144:145], v[86:87], -v[126:127]
	v_add_f64 v[126:127], v[92:93], -v[124:125]
	v_add_f64 v[144:145], v[92:93], v[124:125]
	v_fma_f64 v[92:93], v[150:151], v[60:61], v[128:129]
	v_fma_f64 v[12:13], v[0:1], v[46:47], -v[2:3]
	v_fma_f64 v[30:31], v[140:141], v[78:79], -v[30:31]
	v_add_f64 v[140:141], v[94:95], v[18:19]
	v_fma_f64 v[94:95], v[150:151], v[62:63], -v[130:131]
	s_clause 0x3
	buffer_load_dword v60, off, s[52:55], 0 offset:804
	buffer_load_dword v61, off, s[52:55], 0 offset:808
	;; [unrolled: 1-line block ×4, first 2 shown]
	v_add_f64 v[130:131], v[142:143], v[30:31]
	v_add_f64 v[128:129], v[140:141], v[6:7]
	;; [unrolled: 1-line block ×4, first 2 shown]
	s_waitcnt vmcnt(8)
	v_mul_f64 v[132:133], v[154:155], v[66:67]
	v_mul_f64 v[134:135], v[154:155], v[64:65]
	s_waitcnt vmcnt(4)
	v_mul_f64 v[136:137], v[148:149], v[70:71]
	v_mul_f64 v[138:139], v[148:149], v[68:69]
	s_clause 0x17
	buffer_load_dword v148, off, s[52:55], 0 offset:788
	buffer_load_dword v149, off, s[52:55], 0 offset:792
	;; [unrolled: 1-line block ×24, first 2 shown]
	v_fma_f64 v[84:85], v[152:153], v[64:65], v[132:133]
	v_fma_f64 v[86:87], v[152:153], v[66:67], -v[134:135]
	s_clause 0x3
	buffer_load_dword v152, off, s[52:55], 0 offset:676
	buffer_load_dword v153, off, s[52:55], 0 offset:680
	;; [unrolled: 1-line block ×4, first 2 shown]
	v_fma_f64 v[76:77], v[146:147], v[68:69], v[136:137]
	v_fma_f64 v[78:79], v[146:147], v[70:71], -v[138:139]
	s_waitcnt vmcnt(28)
	v_mul_f64 v[0:1], v[62:63], v[82:83]
	v_mul_f64 v[2:3], v[62:63], v[80:81]
	v_add_f64 v[132:133], v[118:119], v[4:5]
	v_add_f64 v[118:119], v[118:119], -v[4:5]
	v_mul_f64 v[134:135], v[126:127], s[24:25]
	v_mul_f64 v[136:137], v[144:145], s[26:27]
	s_waitcnt vmcnt(0) lgkmcnt(0)
	s_barrier
	buffer_gl0_inv
	v_fma_f64 v[68:69], v[60:61], v[80:81], v[0:1]
	v_fma_f64 v[72:73], v[60:61], v[82:83], -v[2:3]
	v_mul_f64 v[44:45], v[150:151], v[90:91]
	v_mul_f64 v[46:47], v[150:151], v[88:89]
	;; [unrolled: 1-line block ×13, first 2 shown]
	v_fma_f64 v[60:61], v[148:149], v[88:89], v[44:45]
	v_fma_f64 v[64:65], v[148:149], v[90:91], -v[46:47]
	v_mul_f64 v[44:45], v[126:127], s[12:13]
	v_mul_f64 v[46:47], v[144:145], s[14:15]
	;; [unrolled: 1-line block ×3, first 2 shown]
	v_fma_f64 v[62:63], v[172:173], v[96:97], v[62:63]
	v_fma_f64 v[66:67], v[172:173], v[98:99], -v[66:67]
	v_fma_f64 v[80:81], v[164:165], v[106:107], v[138:139]
	v_fma_f64 v[82:83], v[164:165], v[108:109], -v[140:141]
	v_mul_f64 v[108:109], v[144:145], s[4:5]
	v_fma_f64 v[96:97], v[156:157], v[114:115], v[0:1]
	v_fma_f64 v[98:99], v[156:157], v[116:117], -v[2:3]
	v_mul_f64 v[114:115], v[126:127], s[18:19]
	v_mul_f64 v[116:117], v[144:145], s[20:21]
	v_add_f64 v[0:1], v[128:129], v[4:5]
	v_add_f64 v[2:3], v[130:131], v[124:125]
	v_add_f64 v[4:5], v[100:101], -v[122:123]
	v_add_f64 v[100:101], v[100:101], v[122:123]
	v_mul_f64 v[124:125], v[144:145], s[34:35]
	v_mul_f64 v[138:139], v[144:145], s[40:41]
	v_fma_f64 v[70:71], v[168:169], v[102:103], v[70:71]
	v_fma_f64 v[74:75], v[168:169], v[104:105], -v[74:75]
	v_fma_f64 v[102:103], v[132:133], s[26:27], v[134:135]
	v_fma_f64 v[104:105], v[118:119], s[28:29], v[136:137]
	;; [unrolled: 1-line block ×3, first 2 shown]
	v_fma_f64 v[90:91], v[160:161], v[112:113], -v[146:147]
	v_mul_f64 v[106:107], v[126:127], s[0:1]
	v_fma_f64 v[110:111], v[132:133], s[26:27], -v[134:135]
	v_fma_f64 v[112:113], v[118:119], s[24:25], v[136:137]
	v_fma_f64 v[134:135], v[132:133], s[14:15], v[44:45]
	;; [unrolled: 1-line block ×4, first 2 shown]
	v_fma_f64 v[50:51], v[152:153], v[50:51], -v[150:151]
	v_mul_f64 v[122:123], v[126:127], s[30:31]
	v_fma_f64 v[46:47], v[118:119], s[12:13], v[46:47]
	v_fma_f64 v[130:131], v[118:119], s[6:7], v[108:109]
	v_mul_f64 v[126:127], v[126:127], s[38:39]
	v_fma_f64 v[108:109], v[118:119], s[0:1], v[108:109]
	v_fma_f64 v[140:141], v[132:133], s[20:21], v[114:115]
	;; [unrolled: 1-line block ×3, first 2 shown]
	v_add_f64 v[144:145], v[58:59], v[120:121]
	v_add_f64 v[58:59], v[58:59], -v[120:121]
	v_mul_f64 v[120:121], v[4:5], s[12:13]
	v_mul_f64 v[146:147], v[100:101], s[14:15]
	v_fma_f64 v[116:117], v[118:119], s[18:19], v[116:117]
	v_fma_f64 v[150:151], v[118:119], s[36:37], v[124:125]
	v_mul_f64 v[152:153], v[4:5], s[18:19]
	v_mul_f64 v[154:155], v[100:101], s[20:21]
	v_fma_f64 v[124:125], v[118:119], s[30:31], v[124:125]
	v_fma_f64 v[158:159], v[118:119], s[42:43], v[138:139]
	v_fma_f64 v[118:119], v[118:119], s[38:39], v[138:139]
	v_add_f64 v[102:103], v[40:41], v[102:103]
	v_add_f64 v[104:105], v[42:43], v[104:105]
	v_fma_f64 v[44:45], v[132:133], s[14:15], -v[44:45]
	v_fma_f64 v[128:129], v[132:133], s[4:5], v[106:107]
	v_add_f64 v[110:111], v[40:41], v[110:111]
	v_add_f64 v[112:113], v[42:43], v[112:113]
	;; [unrolled: 1-line block ×4, first 2 shown]
	v_fma_f64 v[106:107], v[132:133], s[4:5], -v[106:107]
	v_fma_f64 v[114:115], v[132:133], s[20:21], -v[114:115]
	v_fma_f64 v[148:149], v[132:133], s[34:35], v[122:123]
	v_add_f64 v[46:47], v[42:43], v[46:47]
	v_add_f64 v[130:131], v[42:43], v[130:131]
	v_fma_f64 v[122:123], v[132:133], s[34:35], -v[122:123]
	v_fma_f64 v[156:157], v[132:133], s[40:41], v[126:127]
	v_add_f64 v[108:109], v[42:43], v[108:109]
	v_fma_f64 v[126:127], v[132:133], s[40:41], -v[126:127]
	v_add_f64 v[132:133], v[40:41], v[140:141]
	v_add_f64 v[138:139], v[42:43], v[142:143]
	v_fma_f64 v[140:141], v[144:145], s[14:15], v[120:121]
	v_fma_f64 v[142:143], v[58:59], s[16:17], v[146:147]
	v_add_f64 v[116:117], v[42:43], v[116:117]
	v_add_f64 v[150:151], v[42:43], v[150:151]
	v_fma_f64 v[120:121], v[144:145], s[14:15], -v[120:121]
	v_fma_f64 v[146:147], v[58:59], s[12:13], v[146:147]
	v_mul_f64 v[160:161], v[4:5], s[38:39]
	v_mul_f64 v[162:163], v[100:101], s[40:41]
	v_fma_f64 v[164:165], v[144:145], s[20:21], v[152:153]
	v_fma_f64 v[166:167], v[58:59], s[22:23], v[154:155]
	v_add_f64 v[124:125], v[42:43], v[124:125]
	v_add_f64 v[158:159], v[42:43], v[158:159]
	v_add_f64 v[42:43], v[42:43], v[118:119]
	v_add_f64 v[118:119], v[56:57], -v[30:31]
	v_add_f64 v[30:31], v[56:57], v[30:31]
	v_add_f64 v[44:45], v[40:41], v[44:45]
	;; [unrolled: 1-line block ×8, first 2 shown]
	v_mul_f64 v[168:169], v[4:5], s[36:37]
	v_mul_f64 v[170:171], v[100:101], s[34:35]
	v_add_f64 v[40:41], v[40:41], v[126:127]
	v_add_f64 v[56:57], v[140:141], v[102:103]
	v_add_f64 v[102:103], v[142:143], v[104:105]
	v_fma_f64 v[104:105], v[144:145], s[20:21], -v[152:153]
	v_fma_f64 v[126:127], v[58:59], s[18:19], v[154:155]
	v_mul_f64 v[140:141], v[4:5], s[6:7]
	v_mul_f64 v[142:143], v[100:101], s[4:5]
	v_add_f64 v[110:111], v[120:121], v[110:111]
	v_add_f64 v[112:113], v[146:147], v[112:113]
	v_fma_f64 v[120:121], v[144:145], s[40:41], v[160:161]
	v_fma_f64 v[146:147], v[58:59], s[42:43], v[162:163]
	v_add_f64 v[134:135], v[164:165], v[134:135]
	v_add_f64 v[136:137], v[166:167], v[136:137]
	v_mul_f64 v[4:5], v[4:5], s[28:29]
	v_mul_f64 v[100:101], v[100:101], s[26:27]
	v_fma_f64 v[152:153], v[144:145], s[40:41], -v[160:161]
	v_fma_f64 v[154:155], v[58:59], s[38:39], v[162:163]
	v_add_f64 v[164:165], v[54:55], v[6:7]
	v_add_f64 v[6:7], v[54:55], -v[6:7]
	v_mul_f64 v[54:55], v[118:119], s[0:1]
	v_mul_f64 v[166:167], v[30:31], s[4:5]
	v_fma_f64 v[160:161], v[144:145], s[34:35], v[168:169]
	v_fma_f64 v[162:163], v[58:59], s[30:31], v[170:171]
	v_fma_f64 v[168:169], v[144:145], s[34:35], -v[168:169]
	v_fma_f64 v[170:171], v[58:59], s[36:37], v[170:171]
	v_add_f64 v[44:45], v[104:105], v[44:45]
	v_add_f64 v[46:47], v[126:127], v[46:47]
	v_fma_f64 v[104:105], v[144:145], s[4:5], v[140:141]
	v_fma_f64 v[126:127], v[58:59], s[0:1], v[142:143]
	v_fma_f64 v[140:141], v[144:145], s[4:5], -v[140:141]
	v_fma_f64 v[142:143], v[58:59], s[6:7], v[142:143]
	v_add_f64 v[120:121], v[120:121], v[128:129]
	v_add_f64 v[128:129], v[146:147], v[130:131]
	v_mul_f64 v[130:131], v[118:119], s[38:39]
	v_mul_f64 v[146:147], v[30:31], s[40:41]
	v_fma_f64 v[172:173], v[144:145], s[26:27], v[4:5]
	v_fma_f64 v[174:175], v[58:59], s[24:25], v[100:101]
	v_add_f64 v[106:107], v[152:153], v[106:107]
	v_add_f64 v[108:109], v[154:155], v[108:109]
	v_fma_f64 v[4:5], v[144:145], s[26:27], -v[4:5]
	v_fma_f64 v[58:59], v[58:59], s[28:29], v[100:101]
	v_fma_f64 v[100:101], v[164:165], s[4:5], v[54:55]
	;; [unrolled: 1-line block ×3, first 2 shown]
	v_mul_f64 v[152:153], v[118:119], s[22:23]
	v_mul_f64 v[154:155], v[30:31], s[20:21]
	v_add_f64 v[132:133], v[160:161], v[132:133]
	v_fma_f64 v[54:55], v[164:165], s[4:5], -v[54:55]
	v_mul_f64 v[160:161], v[30:31], s[26:27]
	v_add_f64 v[138:139], v[162:163], v[138:139]
	v_add_f64 v[104:105], v[104:105], v[148:149]
	;; [unrolled: 1-line block ×5, first 2 shown]
	v_fma_f64 v[140:141], v[6:7], s[0:1], v[166:167]
	v_add_f64 v[114:115], v[168:169], v[114:115]
	v_fma_f64 v[142:143], v[164:165], s[40:41], v[130:131]
	v_fma_f64 v[148:149], v[6:7], s[42:43], v[146:147]
	v_add_f64 v[150:151], v[172:173], v[156:157]
	v_add_f64 v[156:157], v[174:175], v[158:159]
	v_fma_f64 v[130:131], v[164:165], s[40:41], -v[130:131]
	v_fma_f64 v[146:147], v[6:7], s[38:39], v[146:147]
	v_mul_f64 v[158:159], v[118:119], s[28:29]
	v_add_f64 v[4:5], v[4:5], v[40:41]
	v_add_f64 v[40:41], v[58:59], v[42:43]
	;; [unrolled: 1-line block ×4, first 2 shown]
	v_add_f64 v[58:59], v[52:53], -v[28:29]
	v_add_f64 v[28:29], v[52:53], v[28:29]
	v_fma_f64 v[52:53], v[164:165], s[20:21], v[152:153]
	v_fma_f64 v[100:101], v[6:7], s[18:19], v[154:155]
	v_mul_f64 v[102:103], v[118:119], s[12:13]
	v_mul_f64 v[144:145], v[30:31], s[14:15]
	v_fma_f64 v[154:155], v[6:7], s[22:23], v[154:155]
	v_fma_f64 v[152:153], v[164:165], s[20:21], -v[152:153]
	v_add_f64 v[54:55], v[54:55], v[110:111]
	v_add_f64 v[110:111], v[140:141], v[112:113]
	v_mul_f64 v[118:119], v[118:119], s[30:31]
	v_add_f64 v[112:113], v[142:143], v[134:135]
	v_add_f64 v[134:135], v[148:149], v[136:137]
	v_mul_f64 v[30:31], v[30:31], s[34:35]
	v_fma_f64 v[136:137], v[6:7], s[24:25], v[160:161]
	v_add_f64 v[44:45], v[130:131], v[44:45]
	v_add_f64 v[46:47], v[146:147], v[46:47]
	v_fma_f64 v[130:131], v[164:165], s[26:27], v[158:159]
	v_fma_f64 v[140:141], v[164:165], s[26:27], -v[158:159]
	v_add_f64 v[146:147], v[34:35], v[18:19]
	v_add_f64 v[18:19], v[34:35], -v[18:19]
	v_add_f64 v[116:117], v[170:171], v[116:117]
	v_mul_f64 v[34:35], v[58:59], s[18:19]
	v_mul_f64 v[148:149], v[28:29], s[20:21]
	v_add_f64 v[52:53], v[52:53], v[120:121]
	v_add_f64 v[100:101], v[100:101], v[128:129]
	v_fma_f64 v[120:121], v[164:165], s[14:15], v[102:103]
	v_fma_f64 v[128:129], v[6:7], s[16:17], v[144:145]
	v_add_f64 v[108:109], v[154:155], v[108:109]
	v_add_f64 v[154:155], v[38:39], v[12:13]
	v_fma_f64 v[142:143], v[6:7], s[28:29], v[160:161]
	v_add_f64 v[106:107], v[152:153], v[106:107]
	v_fma_f64 v[102:103], v[164:165], s[14:15], -v[102:103]
	v_fma_f64 v[144:145], v[6:7], s[12:13], v[144:145]
	v_add_f64 v[152:153], v[36:37], v[20:21]
	v_fma_f64 v[158:159], v[164:165], s[34:35], v[118:119]
	v_fma_f64 v[160:161], v[6:7], s[36:37], v[30:31]
	v_mul_f64 v[162:163], v[58:59], s[36:37]
	v_fma_f64 v[118:119], v[164:165], s[34:35], -v[118:119]
	v_add_f64 v[130:131], v[130:131], v[132:133]
	v_add_f64 v[132:133], v[136:137], v[138:139]
	;; [unrolled: 1-line block ×3, first 2 shown]
	v_fma_f64 v[6:7], v[6:7], s[30:31], v[30:31]
	v_mul_f64 v[166:167], v[28:29], s[34:35]
	v_fma_f64 v[30:31], v[146:147], s[20:21], v[34:35]
	v_fma_f64 v[136:137], v[18:19], s[22:23], v[148:149]
	v_fma_f64 v[34:35], v[146:147], s[20:21], -v[34:35]
	v_fma_f64 v[138:139], v[18:19], s[18:19], v[148:149]
	v_add_f64 v[104:105], v[120:121], v[104:105]
	v_add_f64 v[120:121], v[128:129], v[126:127]
	v_mul_f64 v[126:127], v[58:59], s[28:29]
	v_mul_f64 v[128:129], v[28:29], s[26:27]
	v_add_f64 v[140:141], v[154:155], v[94:95]
	v_add_f64 v[116:117], v[142:143], v[116:117]
	;; [unrolled: 1-line block ×7, first 2 shown]
	v_fma_f64 v[152:153], v[146:147], s[34:35], -v[162:163]
	v_mul_f64 v[156:157], v[58:59], s[0:1]
	v_mul_f64 v[158:159], v[28:29], s[4:5]
	v_add_f64 v[4:5], v[118:119], v[4:5]
	v_mul_f64 v[118:119], v[28:29], s[40:41]
	v_add_f64 v[6:7], v[6:7], v[40:41]
	v_fma_f64 v[148:149], v[146:147], s[34:35], v[162:163]
	v_fma_f64 v[150:151], v[18:19], s[30:31], v[166:167]
	v_add_f64 v[40:41], v[136:137], v[56:57]
	v_add_f64 v[34:35], v[34:35], v[54:55]
	v_add_f64 v[54:55], v[32:33], -v[16:17]
	v_add_f64 v[16:17], v[32:33], v[16:17]
	v_fma_f64 v[154:155], v[18:19], s[36:37], v[166:167]
	v_fma_f64 v[32:33], v[146:147], s[26:27], v[126:127]
	;; [unrolled: 1-line block ×3, first 2 shown]
	v_add_f64 v[136:137], v[140:141], v[86:87]
	v_add_f64 v[30:31], v[30:31], v[42:43]
	;; [unrolled: 1-line block ×3, first 2 shown]
	v_mul_f64 v[110:111], v[58:59], s[42:43]
	v_add_f64 v[124:125], v[124:125], v[84:85]
	v_fma_f64 v[126:127], v[146:147], s[26:27], -v[126:127]
	v_fma_f64 v[128:129], v[18:19], s[28:29], v[128:129]
	v_add_f64 v[44:45], v[152:153], v[44:45]
	v_fma_f64 v[138:139], v[146:147], s[4:5], v[156:157]
	v_fma_f64 v[140:141], v[18:19], s[6:7], v[158:159]
	v_mul_f64 v[58:59], v[58:59], s[16:17]
	v_mul_f64 v[28:29], v[28:29], s[14:15]
	v_add_f64 v[152:153], v[26:27], v[14:15]
	v_add_f64 v[14:15], v[26:27], -v[14:15]
	v_add_f64 v[112:113], v[148:149], v[112:113]
	v_add_f64 v[134:135], v[150:151], v[134:135]
	v_fma_f64 v[148:149], v[146:147], s[4:5], -v[156:157]
	v_mul_f64 v[26:27], v[54:55], s[30:31]
	v_fma_f64 v[150:151], v[18:19], s[0:1], v[158:159]
	v_add_f64 v[46:47], v[154:155], v[46:47]
	v_add_f64 v[32:33], v[32:33], v[52:53]
	v_add_f64 v[52:53], v[56:57], v[100:101]
	v_fma_f64 v[100:101], v[18:19], s[38:39], v[118:119]
	v_add_f64 v[136:137], v[136:137], v[78:79]
	v_mul_f64 v[154:155], v[16:17], s[34:35]
	v_fma_f64 v[56:57], v[146:147], s[40:41], v[110:111]
	v_add_f64 v[124:125], v[124:125], v[76:77]
	v_add_f64 v[106:107], v[126:127], v[106:107]
	;; [unrolled: 1-line block ×3, first 2 shown]
	v_fma_f64 v[110:111], v[146:147], s[40:41], -v[110:111]
	v_fma_f64 v[118:119], v[18:19], s[42:43], v[118:119]
	v_mul_f64 v[126:127], v[54:55], s[6:7]
	v_mul_f64 v[128:129], v[16:17], s[4:5]
	v_add_f64 v[130:131], v[138:139], v[130:131]
	v_add_f64 v[132:133], v[140:141], v[132:133]
	v_fma_f64 v[138:139], v[146:147], s[14:15], v[58:59]
	v_fma_f64 v[140:141], v[18:19], s[12:13], v[28:29]
	;; [unrolled: 1-line block ×3, first 2 shown]
	v_fma_f64 v[58:59], v[146:147], s[14:15], -v[58:59]
	v_fma_f64 v[28:29], v[152:153], s[34:35], v[26:27]
	v_add_f64 v[114:115], v[148:149], v[114:115]
	v_fma_f64 v[26:27], v[152:153], s[34:35], -v[26:27]
	v_add_f64 v[116:117], v[150:151], v[116:117]
	v_add_f64 v[100:101], v[100:101], v[120:121]
	;; [unrolled: 1-line block ×3, first 2 shown]
	v_fma_f64 v[146:147], v[14:15], s[36:37], v[154:155]
	v_fma_f64 v[148:149], v[14:15], s[30:31], v[154:155]
	v_add_f64 v[56:57], v[56:57], v[104:105]
	v_add_f64 v[104:105], v[124:125], v[68:69]
	v_mul_f64 v[124:125], v[54:55], s[12:13]
	v_mul_f64 v[136:137], v[16:17], s[14:15]
	v_add_f64 v[102:103], v[110:111], v[102:103]
	v_add_f64 v[110:111], v[118:119], v[122:123]
	v_fma_f64 v[118:119], v[152:153], s[4:5], v[126:127]
	v_fma_f64 v[122:123], v[14:15], s[0:1], v[128:129]
	v_fma_f64 v[126:127], v[152:153], s[4:5], -v[126:127]
	v_add_f64 v[138:139], v[138:139], v[142:143]
	v_fma_f64 v[128:129], v[14:15], s[6:7], v[128:129]
	v_add_f64 v[6:7], v[18:19], v[6:7]
	v_mul_f64 v[18:19], v[54:55], s[42:43]
	v_add_f64 v[142:143], v[28:29], v[30:31]
	v_add_f64 v[140:141], v[140:141], v[144:145]
	;; [unrolled: 1-line block ×4, first 2 shown]
	v_mul_f64 v[58:59], v[16:17], s[40:41]
	v_add_f64 v[28:29], v[120:121], v[64:65]
	v_add_f64 v[144:145], v[146:147], v[40:41]
	;; [unrolled: 1-line block ×3, first 2 shown]
	v_add_f64 v[148:149], v[22:23], -v[24:25]
	v_add_f64 v[22:23], v[22:23], v[24:25]
	v_add_f64 v[24:25], v[104:105], v[60:61]
	v_fma_f64 v[30:31], v[152:153], s[14:15], v[124:125]
	v_fma_f64 v[34:35], v[14:15], s[16:17], v[136:137]
	v_mul_f64 v[40:41], v[54:55], s[28:29]
	v_add_f64 v[104:105], v[118:119], v[112:113]
	v_add_f64 v[112:113], v[122:123], v[134:135]
	;; [unrolled: 1-line block ×3, first 2 shown]
	v_fma_f64 v[44:45], v[152:153], s[14:15], -v[124:125]
	v_mul_f64 v[54:55], v[54:55], s[18:19]
	v_mul_f64 v[42:43], v[16:17], s[26:27]
	v_fma_f64 v[122:123], v[152:153], s[40:41], v[18:19]
	v_fma_f64 v[18:19], v[152:153], s[40:41], -v[18:19]
	v_add_f64 v[120:121], v[128:129], v[46:47]
	v_fma_f64 v[46:47], v[14:15], s[12:13], v[136:137]
	v_mul_f64 v[16:17], v[16:17], s[20:21]
	v_add_f64 v[126:127], v[10:11], v[8:9]
	v_add_f64 v[128:129], v[10:11], -v[8:9]
	v_add_f64 v[134:135], v[28:29], v[66:67]
	v_fma_f64 v[124:125], v[14:15], s[38:39], v[58:59]
	v_fma_f64 v[58:59], v[14:15], s[42:43], v[58:59]
	v_mul_f64 v[8:9], v[148:149], s[38:39]
	v_mul_f64 v[160:161], v[148:149], s[28:29]
	;; [unrolled: 1-line block ×3, first 2 shown]
	v_add_f64 v[136:137], v[30:31], v[32:33]
	v_add_f64 v[150:151], v[34:35], v[52:53]
	v_fma_f64 v[52:53], v[152:153], s[26:27], v[40:41]
	v_mul_f64 v[10:11], v[22:23], s[40:41]
	v_add_f64 v[24:25], v[24:25], v[62:63]
	v_fma_f64 v[156:157], v[152:153], s[26:27], -v[40:41]
	v_add_f64 v[164:165], v[44:45], v[106:107]
	v_fma_f64 v[106:107], v[152:153], s[20:21], v[54:55]
	v_fma_f64 v[154:155], v[14:15], s[24:25], v[42:43]
	;; [unrolled: 1-line block ×3, first 2 shown]
	v_add_f64 v[32:33], v[18:19], v[114:115]
	v_add_f64 v[28:29], v[122:123], v[130:131]
	v_fma_f64 v[122:123], v[152:153], s[20:21], -v[54:55]
	v_fma_f64 v[166:167], v[14:15], s[22:23], v[16:17]
	v_fma_f64 v[14:15], v[14:15], s[18:19], v[16:17]
	v_add_f64 v[108:109], v[46:47], v[108:109]
	v_add_f64 v[114:115], v[134:135], v[74:75]
	v_mul_f64 v[134:135], v[22:23], s[34:35]
	v_add_f64 v[30:31], v[124:125], v[132:133]
	v_fma_f64 v[16:17], v[126:127], s[40:41], v[8:9]
	v_mul_f64 v[132:133], v[148:149], s[30:31]
	v_fma_f64 v[130:131], v[128:129], s[24:25], v[162:163]
	v_add_f64 v[34:35], v[58:59], v[116:117]
	v_fma_f64 v[116:117], v[126:127], s[40:41], -v[8:9]
	v_add_f64 v[40:41], v[52:53], v[56:57]
	v_fma_f64 v[18:19], v[128:129], s[42:43], v[10:11]
	v_add_f64 v[24:25], v[24:25], v[70:71]
	v_fma_f64 v[124:125], v[128:129], s[38:39], v[10:11]
	v_add_f64 v[44:45], v[156:157], v[102:103]
	v_add_f64 v[52:53], v[106:107], v[138:139]
	v_fma_f64 v[106:107], v[126:127], s[26:27], -v[160:161]
	v_fma_f64 v[138:139], v[128:129], s[28:29], v[162:163]
	v_add_f64 v[46:47], v[158:159], v[110:111]
	v_fma_f64 v[110:111], v[126:127], s[26:27], v[160:161]
	v_add_f64 v[56:57], v[122:123], v[4:5]
	v_mul_f64 v[122:123], v[148:149], s[16:17]
	v_add_f64 v[58:59], v[14:15], v[6:7]
	v_add_f64 v[102:103], v[12:13], -v[50:51]
	v_add_f64 v[114:115], v[114:115], v[82:83]
	v_add_f64 v[42:43], v[154:155], v[100:101]
	;; [unrolled: 1-line block ×4, first 2 shown]
	v_mul_f64 v[140:141], v[22:23], s[14:15]
	v_add_f64 v[14:15], v[130:131], v[112:113]
	v_fma_f64 v[112:113], v[128:129], s[36:37], v[134:135]
	v_add_f64 v[100:101], v[12:13], v[50:51]
	v_add_f64 v[4:5], v[116:117], v[26:27]
	;; [unrolled: 1-line block ×5, first 2 shown]
	v_fma_f64 v[124:125], v[126:127], s[34:35], -v[132:133]
	v_mul_f64 v[26:27], v[148:149], s[18:19]
	v_add_f64 v[16:17], v[106:107], v[118:119]
	v_mul_f64 v[118:119], v[148:149], s[6:7]
	v_add_f64 v[18:19], v[138:139], v[120:121]
	v_mul_f64 v[120:121], v[22:23], s[4:5]
	v_mul_f64 v[116:117], v[22:23], s[20:21]
	v_add_f64 v[12:13], v[110:111], v[104:105]
	v_fma_f64 v[110:111], v[126:127], s[34:35], v[132:133]
	v_fma_f64 v[132:133], v[126:127], s[14:15], v[122:123]
	v_add_f64 v[114:115], v[114:115], v[90:91]
	v_fma_f64 v[122:123], v[126:127], s[14:15], -v[122:123]
	v_add_f64 v[106:107], v[20:21], v[48:49]
	v_mul_f64 v[142:143], v[102:103], s[24:25]
	v_fma_f64 v[130:131], v[128:129], s[30:31], v[134:135]
	v_fma_f64 v[134:135], v[128:129], s[12:13], v[140:141]
	v_add_f64 v[22:23], v[112:113], v[150:151]
	v_fma_f64 v[138:139], v[128:129], s[16:17], v[140:141]
	v_add_f64 v[104:105], v[20:21], -v[48:49]
	v_mul_f64 v[144:145], v[100:101], s[26:27]
	v_add_f64 v[140:141], v[24:25], v[88:89]
	v_add_f64 v[24:25], v[124:125], v[164:165]
	v_fma_f64 v[146:147], v[126:127], s[20:21], v[26:27]
	v_fma_f64 v[152:153], v[126:127], s[20:21], -v[26:27]
	v_fma_f64 v[112:113], v[126:127], s[4:5], v[118:119]
	v_fma_f64 v[118:119], v[126:127], s[4:5], -v[118:119]
	v_fma_f64 v[124:125], v[128:129], s[0:1], v[120:121]
	v_fma_f64 v[148:149], v[128:129], s[22:23], v[116:117]
	;; [unrolled: 1-line block ×3, first 2 shown]
	v_add_f64 v[20:21], v[110:111], v[136:137]
	v_mul_f64 v[110:111], v[100:101], s[14:15]
	v_add_f64 v[114:115], v[114:115], v[98:99]
	v_add_f64 v[32:33], v[122:123], v[32:33]
	v_fma_f64 v[120:121], v[128:129], s[6:7], v[120:121]
	v_fma_f64 v[122:123], v[106:107], s[26:27], v[142:143]
	v_add_f64 v[26:27], v[130:131], v[108:109]
	v_mul_f64 v[108:109], v[102:103], s[12:13]
	v_mul_f64 v[130:131], v[100:101], s[4:5]
	v_add_f64 v[28:29], v[132:133], v[28:29]
	v_add_f64 v[30:31], v[134:135], v[30:31]
	v_fma_f64 v[128:129], v[104:105], s[28:29], v[144:145]
	v_add_f64 v[126:127], v[140:141], v[96:97]
	v_fma_f64 v[132:133], v[106:107], s[26:27], -v[142:143]
	v_fma_f64 v[134:135], v[104:105], s[24:25], v[144:145]
	v_add_f64 v[40:41], v[146:147], v[40:41]
	v_add_f64 v[144:145], v[92:93], v[96:97]
	;; [unrolled: 1-line block ×4, first 2 shown]
	v_mul_f64 v[112:113], v[102:103], s[18:19]
	v_mul_f64 v[118:119], v[100:101], s[20:21]
	v_add_f64 v[54:55], v[124:125], v[54:55]
	v_mul_f64 v[124:125], v[100:101], s[34:35]
	v_mul_f64 v[100:101], v[100:101], s[40:41]
	v_add_f64 v[50:51], v[114:115], v[50:51]
	v_add_f64 v[114:115], v[94:95], -v[98:99]
	v_add_f64 v[94:95], v[94:95], v[98:99]
	v_add_f64 v[46:47], v[116:117], v[46:47]
	v_mul_f64 v[116:117], v[102:103], s[0:1]
	v_add_f64 v[98:99], v[36:37], v[122:123]
	v_mul_f64 v[122:123], v[102:103], s[30:31]
	v_mul_f64 v[102:103], v[102:103], s[38:39]
	v_add_f64 v[92:93], v[92:93], -v[96:97]
	v_add_f64 v[34:35], v[138:139], v[34:35]
	v_add_f64 v[44:45], v[152:153], v[44:45]
	v_fma_f64 v[136:137], v[106:107], s[14:15], v[108:109]
	v_fma_f64 v[138:139], v[104:105], s[16:17], v[110:111]
	v_add_f64 v[58:59], v[120:121], v[58:59]
	v_add_f64 v[120:121], v[38:39], v[128:129]
	v_fma_f64 v[110:111], v[104:105], s[12:13], v[110:111]
	v_fma_f64 v[128:129], v[104:105], s[6:7], v[130:131]
	v_fma_f64 v[140:141], v[106:107], s[20:21], v[112:113]
	v_fma_f64 v[142:143], v[104:105], s[22:23], v[118:119]
	v_fma_f64 v[130:131], v[104:105], s[0:1], v[130:131]
	v_fma_f64 v[118:119], v[104:105], s[18:19], v[118:119]
	v_fma_f64 v[150:151], v[104:105], s[36:37], v[124:125]
	v_fma_f64 v[124:125], v[104:105], s[30:31], v[124:125]
	v_mul_f64 v[96:97], v[114:115], s[12:13]
	v_mul_f64 v[146:147], v[94:95], s[14:15]
	;; [unrolled: 1-line block ×4, first 2 shown]
	v_fma_f64 v[158:159], v[104:105], s[42:43], v[100:101]
	v_fma_f64 v[100:101], v[104:105], s[38:39], v[100:101]
	v_add_f64 v[42:43], v[148:149], v[42:43]
	v_add_f64 v[48:49], v[126:127], v[48:49]
	v_fma_f64 v[108:109], v[106:107], s[14:15], -v[108:109]
	v_fma_f64 v[126:127], v[106:107], s[4:5], v[116:117]
	v_fma_f64 v[116:117], v[106:107], s[4:5], -v[116:117]
	v_fma_f64 v[112:113], v[106:107], s[20:21], -v[112:113]
	v_fma_f64 v[148:149], v[106:107], s[34:35], v[122:123]
	v_fma_f64 v[122:123], v[106:107], s[34:35], -v[122:123]
	v_fma_f64 v[156:157], v[106:107], s[40:41], v[102:103]
	v_fma_f64 v[102:103], v[106:107], s[40:41], -v[102:103]
	v_add_f64 v[104:105], v[36:37], v[140:141]
	v_add_f64 v[106:107], v[38:39], v[142:143]
	v_mul_f64 v[160:161], v[114:115], s[38:39]
	v_mul_f64 v[162:163], v[94:95], s[40:41]
	v_add_f64 v[132:133], v[36:37], v[132:133]
	v_add_f64 v[134:135], v[38:39], v[134:135]
	v_fma_f64 v[140:141], v[144:145], s[14:15], v[96:97]
	v_fma_f64 v[142:143], v[92:93], s[16:17], v[146:147]
	v_add_f64 v[136:137], v[36:37], v[136:137]
	v_add_f64 v[138:139], v[38:39], v[138:139]
	;; [unrolled: 1-line block ×7, first 2 shown]
	v_fma_f64 v[96:97], v[144:145], s[14:15], -v[96:97]
	v_fma_f64 v[146:147], v[92:93], s[12:13], v[146:147]
	v_add_f64 v[124:125], v[38:39], v[124:125]
	v_fma_f64 v[164:165], v[144:145], s[20:21], v[152:153]
	v_fma_f64 v[166:167], v[92:93], s[22:23], v[154:155]
	v_add_f64 v[158:159], v[38:39], v[158:159]
	v_mul_f64 v[168:169], v[114:115], s[36:37]
	v_mul_f64 v[170:171], v[94:95], s[34:35]
	v_add_f64 v[38:39], v[38:39], v[100:101]
	v_add_f64 v[100:101], v[86:87], -v[90:91]
	v_add_f64 v[86:87], v[86:87], v[90:91]
	v_add_f64 v[108:109], v[36:37], v[108:109]
	;; [unrolled: 1-line block ×11, first 2 shown]
	v_mul_f64 v[102:103], v[114:115], s[6:7]
	v_mul_f64 v[120:121], v[94:95], s[4:5]
	v_fma_f64 v[140:141], v[144:145], s[20:21], -v[152:153]
	v_fma_f64 v[142:143], v[92:93], s[18:19], v[154:155]
	v_fma_f64 v[152:153], v[144:145], s[40:41], v[160:161]
	;; [unrolled: 1-line block ×3, first 2 shown]
	v_mul_f64 v[114:115], v[114:115], s[28:29]
	v_mul_f64 v[94:95], v[94:95], s[26:27]
	v_add_f64 v[96:97], v[96:97], v[132:133]
	v_add_f64 v[132:133], v[146:147], v[134:135]
	;; [unrolled: 1-line block ×4, first 2 shown]
	v_fma_f64 v[138:139], v[144:145], s[40:41], -v[160:161]
	v_fma_f64 v[146:147], v[92:93], s[38:39], v[162:163]
	v_fma_f64 v[160:161], v[144:145], s[34:35], v[168:169]
	;; [unrolled: 1-line block ×3, first 2 shown]
	v_add_f64 v[164:165], v[84:85], v[88:89]
	v_add_f64 v[84:85], v[84:85], -v[88:89]
	v_mul_f64 v[88:89], v[100:101], s[0:1]
	v_mul_f64 v[166:167], v[86:87], s[4:5]
	v_fma_f64 v[170:171], v[92:93], s[36:37], v[170:171]
	v_fma_f64 v[168:169], v[144:145], s[34:35], -v[168:169]
	v_fma_f64 v[172:173], v[144:145], s[4:5], v[102:103]
	v_fma_f64 v[174:175], v[92:93], s[0:1], v[120:121]
	v_add_f64 v[108:109], v[140:141], v[108:109]
	v_add_f64 v[110:111], v[142:143], v[110:111]
	v_add_f64 v[126:127], v[152:153], v[126:127]
	v_add_f64 v[128:129], v[154:155], v[128:129]
	v_fma_f64 v[102:103], v[144:145], s[4:5], -v[102:103]
	v_fma_f64 v[120:121], v[92:93], s[6:7], v[120:121]
	v_fma_f64 v[140:141], v[144:145], s[26:27], v[114:115]
	;; [unrolled: 1-line block ×3, first 2 shown]
	v_mul_f64 v[152:153], v[100:101], s[38:39]
	v_mul_f64 v[154:155], v[86:87], s[40:41]
	v_fma_f64 v[92:93], v[92:93], s[28:29], v[94:95]
	v_add_f64 v[116:117], v[138:139], v[116:117]
	v_add_f64 v[94:95], v[160:161], v[104:105]
	;; [unrolled: 1-line block ×4, first 2 shown]
	v_fma_f64 v[114:115], v[144:145], s[26:27], -v[114:115]
	v_fma_f64 v[106:107], v[164:165], s[4:5], v[88:89]
	v_fma_f64 v[138:139], v[84:85], s[6:7], v[166:167]
	v_fma_f64 v[88:89], v[164:165], s[4:5], -v[88:89]
	v_fma_f64 v[160:161], v[84:85], s[0:1], v[166:167]
	v_add_f64 v[144:145], v[172:173], v[148:149]
	v_add_f64 v[146:147], v[174:175], v[150:151]
	v_mul_f64 v[148:149], v[100:101], s[22:23]
	v_mul_f64 v[150:151], v[86:87], s[20:21]
	v_add_f64 v[112:113], v[168:169], v[112:113]
	v_add_f64 v[118:119], v[170:171], v[118:119]
	;; [unrolled: 1-line block ×6, first 2 shown]
	v_fma_f64 v[140:141], v[164:165], s[40:41], v[152:153]
	v_fma_f64 v[142:143], v[84:85], s[42:43], v[154:155]
	v_mul_f64 v[156:157], v[100:101], s[28:29]
	v_mul_f64 v[158:159], v[86:87], s[26:27]
	v_add_f64 v[38:39], v[92:93], v[38:39]
	v_add_f64 v[92:93], v[78:79], -v[82:83]
	v_add_f64 v[78:79], v[78:79], v[82:83]
	v_add_f64 v[36:37], v[114:115], v[36:37]
	;; [unrolled: 1-line block ×4, first 2 shown]
	v_mul_f64 v[106:107], v[86:87], s[14:15]
	v_fma_f64 v[138:139], v[84:85], s[38:39], v[154:155]
	v_mul_f64 v[86:87], v[86:87], s[34:35]
	v_mul_f64 v[98:99], v[100:101], s[12:13]
	v_fma_f64 v[114:115], v[164:165], s[40:41], -v[152:153]
	v_fma_f64 v[152:153], v[164:165], s[20:21], v[148:149]
	v_fma_f64 v[154:155], v[84:85], s[18:19], v[150:151]
	v_mul_f64 v[100:101], v[100:101], s[30:31]
	v_add_f64 v[88:89], v[88:89], v[96:97]
	v_add_f64 v[96:97], v[160:161], v[132:133]
	v_fma_f64 v[132:133], v[164:165], s[20:21], -v[148:149]
	v_fma_f64 v[148:149], v[84:85], s[22:23], v[150:151]
	v_add_f64 v[134:135], v[140:141], v[134:135]
	v_add_f64 v[136:137], v[142:143], v[136:137]
	v_fma_f64 v[140:141], v[164:165], s[26:27], v[156:157]
	v_fma_f64 v[142:143], v[84:85], s[24:25], v[158:159]
	v_add_f64 v[150:151], v[76:77], v[80:81]
	v_add_f64 v[76:77], v[76:77], -v[80:81]
	v_mul_f64 v[80:81], v[92:93], s[18:19]
	v_mul_f64 v[160:161], v[78:79], s[20:21]
	v_fma_f64 v[158:159], v[84:85], s[28:29], v[158:159]
	v_fma_f64 v[156:157], v[164:165], s[26:27], -v[156:157]
	v_fma_f64 v[166:167], v[84:85], s[16:17], v[106:107]
	v_add_f64 v[110:111], v[138:139], v[110:111]
	v_fma_f64 v[106:107], v[84:85], s[12:13], v[106:107]
	v_fma_f64 v[138:139], v[84:85], s[36:37], v[86:87]
	;; [unrolled: 1-line block ×4, first 2 shown]
	v_add_f64 v[108:109], v[114:115], v[108:109]
	v_add_f64 v[114:115], v[152:153], v[126:127]
	;; [unrolled: 1-line block ×3, first 2 shown]
	v_fma_f64 v[98:99], v[164:165], s[14:15], -v[98:99]
	v_fma_f64 v[128:129], v[164:165], s[34:35], v[100:101]
	v_add_f64 v[116:117], v[132:133], v[116:117]
	v_fma_f64 v[100:101], v[164:165], s[34:35], -v[100:101]
	v_mul_f64 v[132:133], v[78:79], s[34:35]
	v_add_f64 v[130:131], v[148:149], v[130:131]
	v_add_f64 v[86:87], v[140:141], v[94:95]
	;; [unrolled: 1-line block ×3, first 2 shown]
	v_mul_f64 v[104:105], v[92:93], s[36:37]
	v_fma_f64 v[140:141], v[150:151], s[20:21], v[80:81]
	v_fma_f64 v[142:143], v[76:77], s[22:23], v[160:161]
	v_mul_f64 v[148:149], v[92:93], s[28:29]
	v_mul_f64 v[152:153], v[78:79], s[26:27]
	v_fma_f64 v[80:81], v[150:151], s[20:21], -v[80:81]
	v_fma_f64 v[154:155], v[76:77], s[18:19], v[160:161]
	v_add_f64 v[112:113], v[156:157], v[112:113]
	v_add_f64 v[118:119], v[158:159], v[118:119]
	;; [unrolled: 1-line block ×3, first 2 shown]
	v_add_f64 v[84:85], v[72:73], -v[74:75]
	v_add_f64 v[72:73], v[72:73], v[74:75]
	v_add_f64 v[156:157], v[68:69], v[70:71]
	v_add_f64 v[68:69], v[68:69], -v[70:71]
	v_add_f64 v[98:99], v[98:99], v[102:103]
	v_add_f64 v[102:103], v[106:107], v[120:121]
	;; [unrolled: 1-line block ×4, first 2 shown]
	v_mul_f64 v[122:123], v[92:93], s[0:1]
	v_mul_f64 v[124:125], v[78:79], s[4:5]
	v_add_f64 v[36:37], v[100:101], v[36:37]
	v_fma_f64 v[100:101], v[76:77], s[30:31], v[132:133]
	v_mul_f64 v[138:139], v[78:79], s[40:41]
	v_fma_f64 v[74:75], v[150:151], s[34:35], v[104:105]
	v_add_f64 v[82:83], v[140:141], v[82:83]
	v_add_f64 v[90:91], v[142:143], v[90:91]
	v_mul_f64 v[128:129], v[92:93], s[42:43]
	v_fma_f64 v[104:105], v[150:151], s[34:35], -v[104:105]
	v_fma_f64 v[132:133], v[76:77], s[36:37], v[132:133]
	v_fma_f64 v[140:141], v[150:151], s[26:27], v[148:149]
	;; [unrolled: 1-line block ×3, first 2 shown]
	v_add_f64 v[80:81], v[80:81], v[88:89]
	v_add_f64 v[88:89], v[154:155], v[96:97]
	v_mul_f64 v[92:93], v[92:93], s[16:17]
	v_mul_f64 v[78:79], v[78:79], s[14:15]
	v_fma_f64 v[96:97], v[150:151], s[26:27], -v[148:149]
	v_fma_f64 v[148:149], v[76:77], s[28:29], v[152:153]
	v_mul_f64 v[158:159], v[72:73], s[34:35]
	v_mul_f64 v[70:71], v[84:85], s[30:31]
	v_add_f64 v[146:147], v[166:167], v[146:147]
	v_fma_f64 v[152:153], v[150:151], s[4:5], v[122:123]
	v_fma_f64 v[154:155], v[76:77], s[6:7], v[124:125]
	;; [unrolled: 1-line block ×3, first 2 shown]
	v_add_f64 v[100:101], v[100:101], v[136:137]
	v_fma_f64 v[136:137], v[76:77], s[38:39], v[138:139]
	v_add_f64 v[144:145], v[162:163], v[144:145]
	v_add_f64 v[74:75], v[74:75], v[134:135]
	v_fma_f64 v[122:123], v[150:151], s[4:5], -v[122:123]
	v_fma_f64 v[134:135], v[150:151], s[40:41], v[128:129]
	v_add_f64 v[104:105], v[104:105], v[108:109]
	v_add_f64 v[108:109], v[132:133], v[110:111]
	;; [unrolled: 1-line block ×4, first 2 shown]
	v_fma_f64 v[126:127], v[150:151], s[40:41], -v[128:129]
	v_fma_f64 v[128:129], v[76:77], s[42:43], v[138:139]
	v_fma_f64 v[132:133], v[150:151], s[14:15], v[92:93]
	;; [unrolled: 1-line block ×3, first 2 shown]
	v_add_f64 v[96:97], v[96:97], v[116:117]
	v_add_f64 v[116:117], v[148:149], v[130:131]
	v_fma_f64 v[92:93], v[150:151], s[14:15], -v[92:93]
	v_fma_f64 v[76:77], v[76:77], s[16:17], v[78:79]
	v_fma_f64 v[130:131], v[68:69], s[36:37], v[158:159]
	v_mul_f64 v[140:141], v[84:85], s[6:7]
	v_add_f64 v[78:79], v[152:153], v[86:87]
	v_add_f64 v[86:87], v[154:155], v[94:95]
	v_fma_f64 v[94:95], v[156:157], s[34:35], v[70:71]
	v_mul_f64 v[142:143], v[72:73], s[4:5]
	v_add_f64 v[118:119], v[124:125], v[118:119]
	v_add_f64 v[124:125], v[136:137], v[146:147]
	v_fma_f64 v[70:71], v[156:157], s[34:35], -v[70:71]
	v_mul_f64 v[136:137], v[84:85], s[12:13]
	v_add_f64 v[112:113], v[122:123], v[112:113]
	v_add_f64 v[122:123], v[134:135], v[144:145]
	v_fma_f64 v[134:135], v[68:69], s[30:31], v[158:159]
	v_mul_f64 v[144:145], v[72:73], s[14:15]
	v_add_f64 v[98:99], v[126:127], v[98:99]
	v_add_f64 v[102:103], v[128:129], v[102:103]
	v_mul_f64 v[126:127], v[84:85], s[42:43]
	v_mul_f64 v[128:129], v[72:73], s[40:41]
	v_add_f64 v[106:107], v[132:133], v[106:107]
	v_add_f64 v[132:133], v[64:65], -v[66:67]
	v_add_f64 v[36:37], v[92:93], v[36:37]
	v_add_f64 v[38:39], v[76:77], v[38:39]
	;; [unrolled: 1-line block ×4, first 2 shown]
	v_fma_f64 v[76:77], v[156:157], s[4:5], v[140:141]
	v_mul_f64 v[90:91], v[84:85], s[28:29]
	v_mul_f64 v[92:93], v[72:73], s[26:27]
	v_add_f64 v[66:67], v[94:95], v[82:83]
	v_fma_f64 v[82:83], v[68:69], s[0:1], v[142:143]
	v_add_f64 v[120:121], v[138:139], v[120:121]
	v_fma_f64 v[138:139], v[68:69], s[6:7], v[142:143]
	v_mul_f64 v[84:85], v[84:85], s[18:19]
	v_add_f64 v[70:71], v[70:71], v[80:81]
	v_fma_f64 v[80:81], v[156:157], s[14:15], v[136:137]
	v_mul_f64 v[72:73], v[72:73], s[20:21]
	v_fma_f64 v[136:137], v[156:157], s[14:15], -v[136:137]
	v_fma_f64 v[94:95], v[156:157], s[4:5], -v[140:141]
	v_add_f64 v[134:135], v[134:135], v[88:89]
	v_fma_f64 v[88:89], v[68:69], s[16:17], v[144:145]
	v_fma_f64 v[140:141], v[68:69], s[12:13], v[144:145]
	;; [unrolled: 1-line block ×4, first 2 shown]
	v_fma_f64 v[126:127], v[156:157], s[40:41], -v[126:127]
	v_fma_f64 v[128:129], v[68:69], s[42:43], v[128:129]
	v_add_f64 v[146:147], v[60:61], v[62:63]
	v_add_f64 v[60:61], v[60:61], -v[62:63]
	v_mul_f64 v[62:63], v[132:133], s[38:39]
	v_mul_f64 v[148:149], v[64:65], s[40:41]
	v_add_f64 v[150:151], v[76:77], v[74:75]
	v_fma_f64 v[74:75], v[156:157], s[26:27], v[90:91]
	v_fma_f64 v[76:77], v[68:69], s[24:25], v[92:93]
	v_add_f64 v[152:153], v[82:83], v[100:101]
	v_fma_f64 v[82:83], v[156:157], s[26:27], -v[90:91]
	v_fma_f64 v[100:101], v[68:69], s[28:29], v[92:93]
	v_add_f64 v[108:109], v[138:139], v[108:109]
	v_fma_f64 v[138:139], v[156:157], s[20:21], v[84:85]
	v_fma_f64 v[154:155], v[68:69], s[22:23], v[72:73]
	v_add_f64 v[136:137], v[136:137], v[96:97]
	v_fma_f64 v[96:97], v[156:157], s[20:21], -v[84:85]
	v_fma_f64 v[68:69], v[68:69], s[18:19], v[72:73]
	v_add_f64 v[114:115], v[88:89], v[114:115]
	v_add_f64 v[104:105], v[94:95], v[104:105]
	;; [unrolled: 1-line block ×6, first 2 shown]
	v_mul_f64 v[112:113], v[132:133], s[28:29]
	v_mul_f64 v[118:119], v[64:65], s[26:27]
	v_add_f64 v[92:93], v[144:145], v[86:87]
	v_fma_f64 v[140:141], v[146:147], s[40:41], v[62:63]
	v_fma_f64 v[142:143], v[60:61], s[42:43], v[148:149]
	v_add_f64 v[86:87], v[74:75], v[122:123]
	v_add_f64 v[84:85], v[76:77], v[124:125]
	v_mul_f64 v[122:123], v[132:133], s[30:31]
	v_mul_f64 v[124:125], v[64:65], s[34:35]
	v_add_f64 v[110:111], v[80:81], v[110:111]
	v_add_f64 v[80:81], v[82:83], v[98:99]
	;; [unrolled: 1-line block ×3, first 2 shown]
	v_mul_f64 v[98:99], v[132:133], s[16:17]
	v_mul_f64 v[100:101], v[64:65], s[14:15]
	v_add_f64 v[72:73], v[138:139], v[106:107]
	v_mul_f64 v[102:103], v[132:133], s[18:19]
	v_mul_f64 v[106:107], v[64:65], s[20:21]
	v_add_f64 v[76:77], v[96:97], v[36:37]
	v_add_f64 v[78:79], v[68:69], v[38:39]
	v_mul_f64 v[36:37], v[132:133], s[6:7]
	v_mul_f64 v[38:39], v[64:65], s[4:5]
	v_add_f64 v[74:75], v[154:155], v[120:121]
	v_fma_f64 v[62:63], v[146:147], s[40:41], -v[62:63]
	v_fma_f64 v[68:69], v[60:61], s[38:39], v[148:149]
	v_fma_f64 v[120:121], v[146:147], s[26:27], v[112:113]
	;; [unrolled: 1-line block ×3, first 2 shown]
	v_add_f64 v[64:65], v[140:141], v[66:67]
	v_add_f64 v[66:67], v[142:143], v[130:131]
	v_fma_f64 v[112:113], v[146:147], s[26:27], -v[112:113]
	v_fma_f64 v[128:129], v[146:147], s[34:35], v[122:123]
	v_fma_f64 v[130:131], v[60:61], s[36:37], v[124:125]
	v_fma_f64 v[118:119], v[60:61], s[28:29], v[118:119]
	v_fma_f64 v[122:123], v[146:147], s[34:35], -v[122:123]
	v_fma_f64 v[124:125], v[60:61], s[30:31], v[124:125]
	v_fma_f64 v[132:133], v[146:147], s[14:15], v[98:99]
	v_fma_f64 v[138:139], v[60:61], s[12:13], v[100:101]
	;; [unrolled: 4-line block ×3, first 2 shown]
	v_fma_f64 v[154:155], v[146:147], s[20:21], -v[102:103]
	v_fma_f64 v[96:97], v[146:147], s[4:5], v[36:37]
	v_fma_f64 v[98:99], v[60:61], s[0:1], v[38:39]
	v_fma_f64 v[100:101], v[146:147], s[4:5], -v[36:37]
	v_fma_f64 v[102:103], v[60:61], s[6:7], v[38:39]
	v_fma_f64 v[156:157], v[60:61], s[18:19], v[106:107]
	v_add_f64 v[36:37], v[62:63], v[70:71]
	v_add_f64 v[38:39], v[68:69], v[134:135]
	;; [unrolled: 1-line block ×22, first 2 shown]
	ds_write_b128 v210, v[0:3]
	ds_write_b128 v210, v[8:11] offset:416
	ds_write_b128 v210, v[12:15] offset:832
	;; [unrolled: 1-line block ×12, first 2 shown]
	ds_write_b128 v211, v[48:51]
	ds_write_b128 v211, v[64:67] offset:416
	ds_write_b128 v211, v[68:71] offset:832
	;; [unrolled: 1-line block ×12, first 2 shown]
	s_waitcnt lgkmcnt(0)
	s_barrier
	buffer_gl0_inv
	ds_read_b128 v[20:23], v252
	ds_read_b128 v[0:3], v252 offset:832
	ds_read_b128 v[100:103], v252 offset:5408
	;; [unrolled: 1-line block ×23, first 2 shown]
	s_and_saveexec_b32 s0, vcc_lo
	s_cbranch_execz .LBB0_9
; %bb.8:
	ds_read_b128 v[60:63], v252 offset:4992
	ds_read_b128 v[36:39], v252 offset:10400
	ds_read_b128 v[236:239], v252 offset:15808
	ds_read_b128 v[104:107], v252 offset:21216
	s_waitcnt lgkmcnt(0)
	buffer_store_dword v104, off, s[52:55], 0 ; 4-byte Folded Spill
	buffer_store_dword v105, off, s[52:55], 0 offset:4 ; 4-byte Folded Spill
	buffer_store_dword v106, off, s[52:55], 0 offset:8 ; 4-byte Folded Spill
	buffer_store_dword v107, off, s[52:55], 0 offset:12 ; 4-byte Folded Spill
.LBB0_9:
	s_or_b32 exec_lo, exec_lo, s0
	s_clause 0x3
	buffer_load_dword v106, off, s[52:55], 0 offset:484
	buffer_load_dword v107, off, s[52:55], 0 offset:488
	;; [unrolled: 1-line block ×4, first 2 shown]
	s_waitcnt lgkmcnt(21)
	v_mul_f64 v[104:105], v[250:251], v[102:103]
	v_fma_f64 v[104:105], v[248:249], v[100:101], v[104:105]
	v_mul_f64 v[100:101], v[250:251], v[100:101]
	v_fma_f64 v[100:101], v[248:249], v[102:103], -v[100:101]
	s_waitcnt vmcnt(0) lgkmcnt(19)
	v_mul_f64 v[102:103], v[108:109], v[98:99]
	v_fma_f64 v[102:103], v[106:107], v[96:97], v[102:103]
	v_mul_f64 v[96:97], v[108:109], v[96:97]
	v_add_f64 v[102:103], v[20:21], -v[102:103]
	v_fma_f64 v[96:97], v[106:107], v[98:99], -v[96:97]
	s_clause 0x3
	buffer_load_dword v106, off, s[52:55], 0 offset:468
	buffer_load_dword v107, off, s[52:55], 0 offset:472
	;; [unrolled: 1-line block ×4, first 2 shown]
	v_add_f64 v[96:97], v[22:23], -v[96:97]
	s_waitcnt vmcnt(0) lgkmcnt(17)
	v_mul_f64 v[98:99], v[108:109], v[94:95]
	v_fma_f64 v[98:99], v[106:107], v[92:93], v[98:99]
	v_mul_f64 v[92:93], v[108:109], v[92:93]
	v_add_f64 v[98:99], v[104:105], -v[98:99]
	v_fma_f64 v[92:93], v[106:107], v[94:95], -v[92:93]
	s_clause 0x3
	buffer_load_dword v106, off, s[52:55], 0 offset:516
	buffer_load_dword v107, off, s[52:55], 0 offset:520
	buffer_load_dword v108, off, s[52:55], 0 offset:524
	buffer_load_dword v109, off, s[52:55], 0 offset:528
	v_add_f64 v[92:93], v[100:101], -v[92:93]
	s_waitcnt vmcnt(0)
	v_mul_f64 v[94:95], v[108:109], v[90:91]
	v_fma_f64 v[94:95], v[106:107], v[88:89], v[94:95]
	v_mul_f64 v[88:89], v[108:109], v[88:89]
	v_fma_f64 v[88:89], v[106:107], v[90:91], -v[88:89]
	s_clause 0x3
	buffer_load_dword v106, off, s[52:55], 0 offset:452
	buffer_load_dword v107, off, s[52:55], 0 offset:456
	;; [unrolled: 1-line block ×4, first 2 shown]
	s_waitcnt vmcnt(0)
	v_mul_f64 v[90:91], v[108:109], v[82:83]
	v_fma_f64 v[90:91], v[106:107], v[80:81], v[90:91]
	v_mul_f64 v[80:81], v[108:109], v[80:81]
	v_add_f64 v[90:91], v[0:1], -v[90:91]
	v_fma_f64 v[80:81], v[106:107], v[82:83], -v[80:81]
	s_clause 0x3
	buffer_load_dword v106, off, s[52:55], 0 offset:500
	buffer_load_dword v107, off, s[52:55], 0 offset:504
	;; [unrolled: 1-line block ×4, first 2 shown]
	v_add_f64 v[80:81], v[2:3], -v[80:81]
	s_waitcnt vmcnt(0) lgkmcnt(16)
	v_mul_f64 v[82:83], v[108:109], v[74:75]
	v_fma_f64 v[82:83], v[106:107], v[72:73], v[82:83]
	v_mul_f64 v[72:73], v[108:109], v[72:73]
	v_add_f64 v[82:83], v[94:95], -v[82:83]
	v_fma_f64 v[72:73], v[106:107], v[74:75], -v[72:73]
	s_clause 0x3
	buffer_load_dword v106, off, s[52:55], 0 offset:548
	buffer_load_dword v107, off, s[52:55], 0 offset:552
	;; [unrolled: 1-line block ×4, first 2 shown]
	s_waitcnt lgkmcnt(13)
	v_mul_f64 v[74:75], v[178:179], v[86:87]
	v_add_f64 v[72:73], v[88:89], -v[72:73]
	v_fma_f64 v[74:75], v[176:177], v[84:85], v[74:75]
	v_mul_f64 v[84:85], v[178:179], v[84:85]
	v_fma_f64 v[84:85], v[176:177], v[86:87], -v[84:85]
	s_waitcnt lgkmcnt(11)
	v_mul_f64 v[86:87], v[186:187], v[78:79]
	v_fma_f64 v[86:87], v[184:185], v[76:77], v[86:87]
	v_mul_f64 v[76:77], v[186:187], v[76:77]
	v_add_f64 v[86:87], v[4:5], -v[86:87]
	v_fma_f64 v[76:77], v[184:185], v[78:79], -v[76:77]
	s_waitcnt lgkmcnt(9)
	v_mul_f64 v[78:79], v[182:183], v[70:71]
	v_fma_f64 v[78:79], v[180:181], v[68:69], v[78:79]
	v_mul_f64 v[68:69], v[182:183], v[68:69]
	v_fma_f64 v[68:69], v[180:181], v[70:71], -v[68:69]
	v_add_f64 v[68:69], v[84:85], -v[68:69]
	s_waitcnt vmcnt(0)
	v_mul_f64 v[70:71], v[108:109], v[66:67]
	v_fma_f64 v[70:71], v[106:107], v[64:65], v[70:71]
	v_mul_f64 v[64:65], v[108:109], v[64:65]
	v_fma_f64 v[64:65], v[106:107], v[66:67], -v[64:65]
	s_clause 0x3
	buffer_load_dword v106, off, s[52:55], 0 offset:532
	buffer_load_dword v107, off, s[52:55], 0 offset:536
	buffer_load_dword v108, off, s[52:55], 0 offset:540
	buffer_load_dword v109, off, s[52:55], 0 offset:544
	s_waitcnt vmcnt(0)
	v_mul_f64 v[66:67], v[108:109], v[54:55]
	v_fma_f64 v[66:67], v[106:107], v[52:53], v[66:67]
	v_mul_f64 v[52:53], v[108:109], v[52:53]
	v_fma_f64 v[52:53], v[106:107], v[54:55], -v[52:53]
	s_clause 0x3
	buffer_load_dword v106, off, s[52:55], 0 offset:564
	buffer_load_dword v107, off, s[52:55], 0 offset:568
	;; [unrolled: 1-line block ×4, first 2 shown]
	s_waitcnt vmcnt(0) lgkmcnt(8)
	v_mul_f64 v[54:55], v[108:109], v[50:51]
	v_fma_f64 v[54:55], v[106:107], v[48:49], v[54:55]
	v_mul_f64 v[48:49], v[108:109], v[48:49]
	v_fma_f64 v[48:49], v[106:107], v[50:51], -v[48:49]
	s_clause 0x3
	buffer_load_dword v106, off, s[52:55], 0 offset:580
	buffer_load_dword v107, off, s[52:55], 0 offset:584
	;; [unrolled: 1-line block ×4, first 2 shown]
	v_add_f64 v[48:49], v[64:65], -v[48:49]
	s_waitcnt vmcnt(0) lgkmcnt(5)
	v_mul_f64 v[50:51], v[108:109], v[58:59]
	v_fma_f64 v[50:51], v[106:107], v[56:57], v[50:51]
	v_mul_f64 v[56:57], v[108:109], v[56:57]
	s_clause 0x3
	buffer_load_dword v108, off, s[52:55], 0 offset:612
	buffer_load_dword v109, off, s[52:55], 0 offset:616
	;; [unrolled: 1-line block ×4, first 2 shown]
	v_fma_f64 v[56:57], v[106:107], v[58:59], -v[56:57]
	s_waitcnt vmcnt(0) lgkmcnt(3)
	v_mul_f64 v[58:59], v[110:111], v[46:47]
	v_mul_f64 v[106:107], v[110:111], v[44:45]
	v_fma_f64 v[44:45], v[108:109], v[44:45], v[58:59]
	v_fma_f64 v[46:47], v[108:109], v[46:47], -v[106:107]
	s_clause 0x7
	buffer_load_dword v108, off, s[52:55], 0 offset:628
	buffer_load_dword v109, off, s[52:55], 0 offset:632
	;; [unrolled: 1-line block ×8, first 2 shown]
	s_waitcnt vmcnt(4) lgkmcnt(1)
	v_mul_f64 v[58:59], v[110:111], v[42:43]
	v_mul_f64 v[106:107], v[110:111], v[40:41]
	v_fma_f64 v[40:41], v[108:109], v[40:41], v[58:59]
	v_fma_f64 v[42:43], v[108:109], v[42:43], -v[106:107]
	s_waitcnt vmcnt(0)
	v_mul_f64 v[58:59], v[118:119], v[26:27]
	v_mul_f64 v[106:107], v[118:119], v[24:25]
	s_clause 0x3
	buffer_load_dword v118, off, s[52:55], 0 offset:644
	buffer_load_dword v119, off, s[52:55], 0 offset:648
	buffer_load_dword v120, off, s[52:55], 0 offset:652
	buffer_load_dword v121, off, s[52:55], 0 offset:656
	v_fma_f64 v[24:25], v[116:117], v[24:25], v[58:59]
	v_fma_f64 v[26:27], v[116:117], v[26:27], -v[106:107]
	v_fma_f64 v[106:107], v[22:23], 2.0, -v[96:97]
	v_fma_f64 v[22:23], v[100:101], 2.0, -v[92:93]
	v_add_f64 v[100:101], v[6:7], -v[76:77]
	v_add_f64 v[76:77], v[74:75], -v[78:79]
	v_fma_f64 v[58:59], v[20:21], 2.0, -v[102:103]
	v_fma_f64 v[20:21], v[104:105], 2.0, -v[98:99]
	v_add_f64 v[104:105], v[8:9], -v[66:67]
	v_fma_f64 v[78:79], v[0:1], 2.0, -v[90:91]
	v_add_f64 v[22:23], v[106:107], -v[22:23]
	v_add_f64 v[20:21], v[58:59], -v[20:21]
	v_fma_f64 v[0:1], v[58:59], 2.0, -v[20:21]
	s_waitcnt vmcnt(0)
	v_mul_f64 v[108:109], v[120:121], v[30:31]
	v_mul_f64 v[110:111], v[120:121], v[28:29]
	s_clause 0x3
	buffer_load_dword v120, off, s[52:55], 0 offset:660
	buffer_load_dword v121, off, s[52:55], 0 offset:664
	;; [unrolled: 1-line block ×4, first 2 shown]
	v_fma_f64 v[28:29], v[118:119], v[28:29], v[108:109]
	v_fma_f64 v[30:31], v[118:119], v[30:31], -v[110:111]
	v_add_f64 v[108:109], v[10:11], -v[52:53]
	v_add_f64 v[52:53], v[70:71], -v[54:55]
	v_add_f64 v[110:111], v[12:13], -v[44:45]
	v_add_f64 v[44:45], v[56:57], -v[42:43]
	v_fma_f64 v[118:119], v[2:3], 2.0, -v[80:81]
	v_fma_f64 v[42:43], v[64:65], 2.0, -v[48:49]
	;; [unrolled: 1-line block ×3, first 2 shown]
	v_add_f64 v[116:117], v[18:19], -v[30:31]
	v_fma_f64 v[30:31], v[88:89], 2.0, -v[72:73]
	v_fma_f64 v[88:89], v[4:5], 2.0, -v[86:87]
	v_add_f64 v[4:5], v[102:103], v[92:93]
	v_fma_f64 v[56:57], v[56:57], 2.0, -v[44:45]
	v_add_f64 v[44:45], v[110:111], v[44:45]
	v_fma_f64 v[128:129], v[18:19], 2.0, -v[116:117]
	v_fma_f64 v[92:93], v[110:111], 2.0, -v[44:45]
	s_waitcnt vmcnt(0) lgkmcnt(0)
	v_mul_f64 v[112:113], v[122:123], v[34:35]
	v_mul_f64 v[114:115], v[122:123], v[32:33]
	v_fma_f64 v[122:123], v[12:13], 2.0, -v[110:111]
	v_add_f64 v[12:13], v[90:91], v[72:73]
	v_fma_f64 v[32:33], v[120:121], v[32:33], v[112:113]
	v_fma_f64 v[34:35], v[120:121], v[34:35], -v[114:115]
	v_add_f64 v[112:113], v[14:15], -v[46:47]
	v_add_f64 v[46:47], v[50:51], -v[40:41]
	v_add_f64 v[114:115], v[16:17], -v[28:29]
	v_fma_f64 v[28:29], v[94:95], 2.0, -v[82:83]
	v_fma_f64 v[94:95], v[6:7], 2.0, -v[100:101]
	;; [unrolled: 1-line block ×4, first 2 shown]
	v_add_f64 v[6:7], v[96:97], -v[98:99]
	v_add_f64 v[10:11], v[118:119], -v[30:31]
	;; [unrolled: 1-line block ×4, first 2 shown]
	v_fma_f64 v[32:33], v[74:75], 2.0, -v[76:77]
	v_fma_f64 v[34:35], v[84:85], 2.0, -v[68:69]
	;; [unrolled: 1-line block ×6, first 2 shown]
	v_add_f64 v[8:9], v[78:79], -v[28:29]
	v_add_f64 v[14:15], v[80:81], -v[82:83]
	;; [unrolled: 1-line block ×4, first 2 shown]
	v_fma_f64 v[58:59], v[96:97], 2.0, -v[6:7]
	v_fma_f64 v[64:65], v[24:25], 2.0, -v[54:55]
	;; [unrolled: 1-line block ×3, first 2 shown]
	v_add_f64 v[16:17], v[88:89], -v[32:33]
	v_add_f64 v[18:19], v[94:95], -v[34:35]
	v_add_f64 v[24:25], v[86:87], v[68:69]
	v_add_f64 v[26:27], v[100:101], -v[76:77]
	v_add_f64 v[28:29], v[84:85], -v[40:41]
	v_add_f64 v[32:33], v[104:105], v[48:49]
	v_add_f64 v[34:35], v[108:109], -v[52:53]
	v_add_f64 v[40:41], v[122:123], -v[50:51]
	v_add_f64 v[42:43], v[124:125], -v[56:57]
	v_add_f64 v[52:53], v[114:115], v[66:67]
	v_add_f64 v[54:55], v[116:117], -v[54:55]
	v_fma_f64 v[56:57], v[102:103], 2.0, -v[4:5]
	v_fma_f64 v[66:67], v[118:119], 2.0, -v[10:11]
	;; [unrolled: 1-line block ×4, first 2 shown]
	v_add_f64 v[48:49], v[126:127], -v[64:65]
	v_add_f64 v[50:51], v[128:129], -v[70:71]
	v_fma_f64 v[64:65], v[78:79], 2.0, -v[8:9]
	v_fma_f64 v[70:71], v[80:81], 2.0, -v[14:15]
	;; [unrolled: 1-line block ×16, first 2 shown]
	ds_write_b128 v252, v[0:3]
	ds_write_b128 v252, v[56:59] offset:5408
	ds_write_b128 v252, v[20:23] offset:10816
	;; [unrolled: 1-line block ×23, first 2 shown]
	s_and_saveexec_b32 s0, vcc_lo
	s_cbranch_execz .LBB0_11
; %bb.10:
	s_clause 0xb
	buffer_load_dword v12, off, s[52:55], 0 offset:1140
	buffer_load_dword v13, off, s[52:55], 0 offset:1144
	;; [unrolled: 1-line block ×8, first 2 shown]
	buffer_load_dword v20, off, s[52:55], 0
	buffer_load_dword v21, off, s[52:55], 0 offset:4
	buffer_load_dword v22, off, s[52:55], 0 offset:8
	;; [unrolled: 1-line block ×3, first 2 shown]
	v_mul_f64 v[2:3], v[246:247], v[38:39]
	v_mul_f64 v[4:5], v[246:247], v[36:37]
	v_fma_f64 v[2:3], v[244:245], v[36:37], v[2:3]
	v_fma_f64 v[4:5], v[244:245], v[38:39], -v[4:5]
	s_waitcnt vmcnt(8)
	v_mul_f64 v[0:1], v[14:15], v[236:237]
	s_waitcnt vmcnt(2)
	v_mul_f64 v[6:7], v[18:19], v[20:21]
	v_mul_f64 v[8:9], v[14:15], v[238:239]
	s_waitcnt vmcnt(0)
	v_mul_f64 v[10:11], v[18:19], v[22:23]
	v_fma_f64 v[0:1], v[12:13], v[238:239], -v[0:1]
	v_fma_f64 v[6:7], v[16:17], v[22:23], -v[6:7]
	v_fma_f64 v[8:9], v[12:13], v[236:237], v[8:9]
	v_fma_f64 v[10:11], v[16:17], v[20:21], v[10:11]
	v_add_f64 v[12:13], v[62:63], -v[0:1]
	v_add_f64 v[0:1], v[4:5], -v[6:7]
	;; [unrolled: 1-line block ×4, first 2 shown]
	v_fma_f64 v[14:15], v[62:63], 2.0, -v[12:13]
	v_fma_f64 v[4:5], v[4:5], 2.0, -v[0:1]
	;; [unrolled: 1-line block ×4, first 2 shown]
	v_add_f64 v[2:3], v[12:13], -v[6:7]
	v_add_f64 v[0:1], v[8:9], v[0:1]
	v_add_f64 v[6:7], v[14:15], -v[4:5]
	v_add_f64 v[4:5], v[16:17], -v[10:11]
	v_fma_f64 v[10:11], v[12:13], 2.0, -v[2:3]
	v_fma_f64 v[8:9], v[8:9], 2.0, -v[0:1]
	;; [unrolled: 1-line block ×4, first 2 shown]
	ds_write_b128 v252, v[8:11] offset:10400
	ds_write_b128 v252, v[4:7] offset:15808
	;; [unrolled: 1-line block ×4, first 2 shown]
.LBB0_11:
	s_or_b32 exec_lo, exec_lo, s0
	s_waitcnt lgkmcnt(0)
	s_waitcnt_vscnt null, 0x0
	s_barrier
	buffer_gl0_inv
	ds_read_b128 v[0:3], v252
	ds_read_b128 v[4:7], v252 offset:10816
	s_clause 0x1
	buffer_load_dword v52, off, s[52:55], 0 offset:16
	buffer_load_dword v53, off, s[52:55], 0 offset:20
	ds_read_b128 v[8:11], v252 offset:832
	ds_read_b128 v[14:17], v252 offset:9984
	s_clause 0x3
	buffer_load_dword v53, off, s[52:55], 0 offset:36
	buffer_load_dword v54, off, s[52:55], 0 offset:40
	buffer_load_dword v55, off, s[52:55], 0 offset:44
	buffer_load_dword v56, off, s[52:55], 0 offset:48
	v_mad_u64_u32 v[46:47], null, s8, v253, 0
	s_mov_b32 s0, 0x7ab2bedd
	s_mov_b32 s1, 0x3f483c97
	s_mul_i32 s6, s9, 0x2a40
	s_mul_hi_u32 s7, s8, 0x2a40
	s_mul_i32 s4, s8, 0x2a40
	s_add_i32 s6, s7, s6
	s_mul_i32 s5, s8, 0xffffd900
	s_mul_hi_u32 s12, s8, 0xffffd900
	s_sub_i32 s7, s12, s8
	s_waitcnt vmcnt(5)
	v_mad_u64_u32 v[12:13], null, s10, v52, 0
	s_waitcnt vmcnt(0) lgkmcnt(3)
	v_mul_f64 v[38:39], v[55:56], v[2:3]
	v_mul_f64 v[40:41], v[55:56], v[0:1]
	s_clause 0x3
	buffer_load_dword v55, off, s[52:55], 0 offset:164
	buffer_load_dword v56, off, s[52:55], 0 offset:168
	;; [unrolled: 1-line block ×4, first 2 shown]
	ds_read_b128 v[18:21], v252 offset:11648
	ds_read_b128 v[22:25], v252 offset:1664
	;; [unrolled: 1-line block ×5, first 2 shown]
	s_clause 0xb
	buffer_load_dword v69, off, s[52:55], 0 offset:180
	buffer_load_dword v70, off, s[52:55], 0 offset:184
	;; [unrolled: 1-line block ×12, first 2 shown]
	s_mul_i32 s10, s9, 0xffffd900
	v_fma_f64 v[0:1], v[53:54], v[0:1], v[38:39]
	v_fma_f64 v[2:3], v[53:54], v[2:3], -v[40:41]
	s_waitcnt lgkmcnt(5)
	v_mad_u64_u32 v[38:39], null, s11, v52, v[13:14]
	v_mov_b32_e32 v13, v38
	v_lshlrev_b64 v[12:13], 4, v[12:13]
	v_mul_f64 v[0:1], v[0:1], s[0:1]
	v_mul_f64 v[2:3], v[2:3], s[0:1]
	s_waitcnt vmcnt(12)
	v_mul_f64 v[42:43], v[57:58], v[6:7]
	v_mul_f64 v[44:45], v[57:58], v[4:5]
	s_waitcnt vmcnt(8)
	v_mul_f64 v[48:49], v[71:72], v[10:11]
	v_mul_f64 v[50:51], v[71:72], v[8:9]
	s_clause 0x3
	buffer_load_dword v71, off, s[52:55], 0 offset:196
	buffer_load_dword v72, off, s[52:55], 0 offset:200
	;; [unrolled: 1-line block ×4, first 2 shown]
	s_waitcnt vmcnt(4) lgkmcnt(3)
	v_mul_f64 v[52:53], v[62:63], v[22:23]
	v_fma_f64 v[4:5], v[55:56], v[4:5], v[42:43]
	v_fma_f64 v[6:7], v[55:56], v[6:7], -v[44:45]
	v_mul_f64 v[44:45], v[62:63], v[24:25]
	v_mad_u64_u32 v[39:40], null, s9, v253, v[47:48]
	v_mul_f64 v[40:41], v[67:68], v[20:21]
	v_add_co_u32 v63, vcc_lo, s2, v12
	v_add_co_ci_u32_e32 v64, vcc_lo, s3, v13, vcc_lo
	v_mul_f64 v[42:43], v[67:68], v[18:19]
	v_mov_b32_e32 v47, v39
	v_fma_f64 v[10:11], v[69:70], v[10:11], -v[50:51]
	v_fma_f64 v[24:25], v[60:61], v[24:25], -v[52:53]
	v_fma_f64 v[8:9], v[69:70], v[8:9], v[48:49]
	s_add_i32 s2, s7, s10
	v_lshlrev_b64 v[46:47], 4, v[46:47]
	v_mul_f64 v[4:5], v[4:5], s[0:1]
	v_mul_f64 v[6:7], v[6:7], s[0:1]
	v_add_co_u32 v12, vcc_lo, v63, v46
	v_add_co_ci_u32_e32 v13, vcc_lo, v64, v47, vcc_lo
	v_fma_f64 v[18:19], v[65:66], v[18:19], v[40:41]
	v_add_co_u32 v40, vcc_lo, v12, s4
	v_add_co_ci_u32_e32 v41, vcc_lo, s6, v13, vcc_lo
	v_fma_f64 v[20:21], v[65:66], v[20:21], -v[42:43]
	v_add_co_u32 v42, vcc_lo, v40, s5
	v_add_co_ci_u32_e32 v43, vcc_lo, s2, v41, vcc_lo
	v_fma_f64 v[22:23], v[60:61], v[22:23], v[44:45]
	v_mul_f64 v[8:9], v[8:9], s[0:1]
	v_mul_f64 v[10:11], v[10:11], s[0:1]
	;; [unrolled: 1-line block ×3, first 2 shown]
	v_add_co_u32 v44, vcc_lo, v42, s4
	v_add_co_ci_u32_e32 v45, vcc_lo, s6, v43, vcc_lo
	v_add_co_u32 v48, vcc_lo, v44, s5
	v_add_co_ci_u32_e32 v49, vcc_lo, s2, v45, vcc_lo
	v_mul_f64 v[22:23], v[22:23], s[0:1]
	s_waitcnt vmcnt(0) lgkmcnt(2)
	v_mul_f64 v[54:55], v[73:74], v[28:29]
	v_mul_f64 v[38:39], v[73:74], v[26:27]
	s_clause 0x3
	buffer_load_dword v73, off, s[52:55], 0 offset:212
	buffer_load_dword v74, off, s[52:55], 0 offset:216
	;; [unrolled: 1-line block ×4, first 2 shown]
	global_store_dwordx4 v[12:13], v[0:3], off
	global_store_dwordx4 v[40:41], v[4:7], off
	ds_read_b128 v[0:3], v252 offset:14144
	s_clause 0x4
	buffer_load_dword v50, off, s[52:55], 0 offset:52
	buffer_load_dword v51, off, s[52:55], 0 offset:56
	;; [unrolled: 1-line block ×5, first 2 shown]
	v_mul_f64 v[4:5], v[18:19], s[0:1]
	v_mul_f64 v[6:7], v[20:21], s[0:1]
	ds_read_b128 v[18:21], v252 offset:3328
	v_fma_f64 v[26:27], v[71:72], v[26:27], v[54:55]
	v_fma_f64 v[28:29], v[71:72], v[28:29], -v[38:39]
	v_mul_f64 v[26:27], v[26:27], s[0:1]
	v_mul_f64 v[28:29], v[28:29], s[0:1]
	s_waitcnt vmcnt(5) lgkmcnt(3)
	v_mul_f64 v[58:59], v[75:76], v[30:31]
	v_mul_f64 v[56:57], v[75:76], v[32:33]
	s_waitcnt vmcnt(1) lgkmcnt(2)
	v_mul_f64 v[12:13], v[52:53], v[36:37]
	v_mul_f64 v[38:39], v[52:53], v[34:35]
	s_waitcnt vmcnt(0)
	v_mad_u64_u32 v[46:47], null, s8, v40, 0
	v_fma_f64 v[32:33], v[73:74], v[32:33], -v[58:59]
	v_fma_f64 v[30:31], v[73:74], v[30:31], v[56:57]
	v_add_co_u32 v56, vcc_lo, v48, s4
	v_fma_f64 v[12:13], v[50:51], v[34:35], v[12:13]
	v_fma_f64 v[50:51], v[50:51], v[36:37], -v[38:39]
	ds_read_b128 v[34:37], v252 offset:4160
	s_clause 0x3
	buffer_load_dword v69, off, s[52:55], 0 offset:116
	buffer_load_dword v70, off, s[52:55], 0 offset:120
	;; [unrolled: 1-line block ×4, first 2 shown]
	v_mov_b32_e32 v38, v47
	v_add_co_ci_u32_e32 v57, vcc_lo, s6, v49, vcc_lo
	v_mad_u64_u32 v[58:59], null, s9, v40, v[38:39]
	ds_read_b128 v[38:41], v252 offset:14976
	s_clause 0x3
	buffer_load_dword v65, off, s[52:55], 0 offset:68
	buffer_load_dword v66, off, s[52:55], 0 offset:72
	;; [unrolled: 1-line block ×4, first 2 shown]
	v_add_co_u32 v59, vcc_lo, v56, s5
	v_add_co_ci_u32_e32 v60, vcc_lo, s2, v57, vcc_lo
	v_mov_b32_e32 v47, v58
	v_mul_f64 v[32:33], v[32:33], s[0:1]
	v_mul_f64 v[30:31], v[30:31], s[0:1]
	global_store_dwordx4 v[42:43], v[8:11], off
	global_store_dwordx4 v[44:45], v[4:7], off
	;; [unrolled: 1-line block ×5, first 2 shown]
	v_mul_f64 v[4:5], v[12:13], s[0:1]
	v_mul_f64 v[6:7], v[50:51], s[0:1]
	v_lshlrev_b64 v[22:23], 4, v[46:47]
	v_mad_u64_u32 v[46:47], null, 0x340, s8, v[59:60]
	v_add_co_u32 v50, vcc_lo, v63, v22
	v_add_co_ci_u32_e32 v51, vcc_lo, v64, v23, vcc_lo
	s_waitcnt vmcnt(4) lgkmcnt(2)
	v_mul_f64 v[52:53], v[71:72], v[20:21]
	v_mul_f64 v[54:55], v[71:72], v[18:19]
	s_waitcnt vmcnt(0)
	v_mul_f64 v[61:62], v[67:68], v[2:3]
	v_mul_f64 v[26:27], v[67:68], v[0:1]
	v_fma_f64 v[12:13], v[69:70], v[18:19], v[52:53]
	v_fma_f64 v[28:29], v[69:70], v[20:21], -v[54:55]
	s_clause 0x3
	buffer_load_dword v54, off, s[52:55], 0 offset:84
	buffer_load_dword v55, off, s[52:55], 0 offset:88
	;; [unrolled: 1-line block ×4, first 2 shown]
	ds_read_b128 v[8:11], v252 offset:15808
	s_clause 0x3
	buffer_load_dword v67, off, s[52:55], 0 offset:100
	buffer_load_dword v68, off, s[52:55], 0 offset:104
	;; [unrolled: 1-line block ×4, first 2 shown]
	global_store_dwordx4 v[50:51], v[4:7], off
	ds_read_b128 v[18:21], v252 offset:4992
	ds_read_b128 v[22:25], v252 offset:5824
	v_fma_f64 v[48:49], v[65:66], v[0:1], v[61:62]
	v_fma_f64 v[52:53], v[65:66], v[2:3], -v[26:27]
	ds_read_b128 v[0:3], v252 offset:16640
	v_mul_f64 v[4:5], v[12:13], s[0:1]
	v_mul_f64 v[6:7], v[28:29], s[0:1]
	v_mad_u64_u32 v[12:13], null, 0x340, s9, v[47:48]
	v_mul_f64 v[26:27], v[48:49], s[0:1]
	v_mul_f64 v[28:29], v[52:53], s[0:1]
	v_add_co_u32 v52, vcc_lo, v46, s4
	v_mov_b32_e32 v47, v12
	v_add_co_ci_u32_e32 v53, vcc_lo, s6, v47, vcc_lo
	s_waitcnt vmcnt(4) lgkmcnt(5)
	v_mul_f64 v[30:31], v[56:57], v[36:37]
	v_mul_f64 v[32:33], v[56:57], v[34:35]
	s_waitcnt vmcnt(0) lgkmcnt(4)
	v_mul_f64 v[42:43], v[69:70], v[40:41]
	v_mul_f64 v[44:45], v[69:70], v[38:39]
	v_fma_f64 v[50:51], v[54:55], v[34:35], v[30:31]
	v_fma_f64 v[54:55], v[54:55], v[36:37], -v[32:33]
	v_fma_f64 v[42:43], v[67:68], v[38:39], v[42:43]
	v_fma_f64 v[44:45], v[67:68], v[40:41], -v[44:45]
	s_clause 0x3
	buffer_load_dword v68, off, s[52:55], 0 offset:228
	buffer_load_dword v69, off, s[52:55], 0 offset:232
	;; [unrolled: 1-line block ×4, first 2 shown]
	v_mul_f64 v[38:39], v[50:51], s[0:1]
	v_mul_f64 v[40:41], v[54:55], s[0:1]
	;; [unrolled: 1-line block ×4, first 2 shown]
	v_add_co_u32 v50, vcc_lo, v52, s5
	v_add_co_ci_u32_e32 v51, vcc_lo, s2, v53, vcc_lo
	s_waitcnt vmcnt(0) lgkmcnt(2)
	v_mul_f64 v[56:57], v[70:71], v[20:21]
	v_mul_f64 v[58:59], v[70:71], v[18:19]
	s_clause 0x3
	buffer_load_dword v70, off, s[52:55], 0 offset:244
	buffer_load_dword v71, off, s[52:55], 0 offset:248
	;; [unrolled: 1-line block ×4, first 2 shown]
	v_fma_f64 v[18:19], v[68:69], v[18:19], v[56:57]
	v_add_co_u32 v56, vcc_lo, v50, s4
	v_add_co_ci_u32_e32 v57, vcc_lo, s6, v51, vcc_lo
	v_fma_f64 v[20:21], v[68:69], v[20:21], -v[58:59]
	s_waitcnt vmcnt(0)
	v_mul_f64 v[12:13], v[72:73], v[10:11]
	v_mul_f64 v[48:49], v[72:73], v[8:9]
	s_clause 0x3
	buffer_load_dword v72, off, s[52:55], 0 offset:308
	buffer_load_dword v73, off, s[52:55], 0 offset:312
	;; [unrolled: 1-line block ×4, first 2 shown]
	ds_read_b128 v[30:33], v252 offset:17472
	v_fma_f64 v[8:9], v[70:71], v[8:9], v[12:13]
	v_fma_f64 v[10:11], v[70:71], v[10:11], -v[48:49]
	v_mul_f64 v[8:9], v[8:9], s[0:1]
	v_mul_f64 v[10:11], v[10:11], s[0:1]
	s_waitcnt vmcnt(0) lgkmcnt(2)
	v_mul_f64 v[60:61], v[74:75], v[24:25]
	v_mul_f64 v[62:63], v[74:75], v[22:23]
	s_clause 0x3
	buffer_load_dword v74, off, s[52:55], 0 offset:340
	buffer_load_dword v75, off, s[52:55], 0 offset:344
	;; [unrolled: 1-line block ×4, first 2 shown]
	ds_read_b128 v[34:37], v252 offset:6656
	v_fma_f64 v[12:13], v[72:73], v[22:23], v[60:61]
	v_fma_f64 v[22:23], v[72:73], v[24:25], -v[62:63]
	s_waitcnt vmcnt(0) lgkmcnt(2)
	v_mul_f64 v[64:65], v[76:77], v[2:3]
	v_mul_f64 v[66:67], v[76:77], v[0:1]
	v_fma_f64 v[24:25], v[74:75], v[0:1], v[64:65]
	v_fma_f64 v[48:49], v[74:75], v[2:3], -v[66:67]
	ds_read_b128 v[0:3], v252 offset:7488
	s_clause 0x3
	buffer_load_dword v58, off, s[52:55], 0 offset:404
	buffer_load_dword v59, off, s[52:55], 0 offset:408
	buffer_load_dword v60, off, s[52:55], 0 offset:412
	buffer_load_dword v61, off, s[52:55], 0 offset:416
	global_store_dwordx4 v[46:47], v[4:7], off
	global_store_dwordx4 v[52:53], v[26:29], off
	;; [unrolled: 1-line block ×4, first 2 shown]
	s_clause 0x3
	buffer_load_dword v50, off, s[52:55], 0 offset:388
	buffer_load_dword v51, off, s[52:55], 0 offset:392
	;; [unrolled: 1-line block ×4, first 2 shown]
	v_mul_f64 v[4:5], v[18:19], s[0:1]
	v_mul_f64 v[6:7], v[20:21], s[0:1]
	;; [unrolled: 1-line block ×4, first 2 shown]
	v_add_co_u32 v42, vcc_lo, v56, s5
	v_add_co_ci_u32_e32 v43, vcc_lo, s2, v57, vcc_lo
	v_mul_f64 v[22:23], v[24:25], s[0:1]
	v_mul_f64 v[24:25], v[48:49], s[0:1]
	s_waitcnt vmcnt(4) lgkmcnt(1)
	v_mul_f64 v[54:55], v[60:61], v[36:37]
	v_mul_f64 v[26:27], v[60:61], v[34:35]
	s_waitcnt vmcnt(0)
	v_mul_f64 v[38:39], v[52:53], v[32:33]
	v_mul_f64 v[40:41], v[52:53], v[30:31]
	v_fma_f64 v[12:13], v[58:59], v[34:35], v[54:55]
	v_fma_f64 v[36:37], v[58:59], v[36:37], -v[26:27]
	ds_read_b128 v[26:29], v252 offset:18304
	v_fma_f64 v[38:39], v[50:51], v[30:31], v[38:39]
	s_clause 0x3
	buffer_load_dword v52, off, s[52:55], 0 offset:260
	buffer_load_dword v53, off, s[52:55], 0 offset:264
	;; [unrolled: 1-line block ×4, first 2 shown]
	v_add_co_u32 v34, vcc_lo, v42, s4
	v_add_co_ci_u32_e32 v35, vcc_lo, s6, v43, vcc_lo
	v_fma_f64 v[46:47], v[50:51], v[32:33], -v[40:41]
	v_add_co_u32 v44, vcc_lo, v34, s5
	v_add_co_ci_u32_e32 v45, vcc_lo, s2, v35, vcc_lo
	global_store_dwordx4 v[42:43], v[4:7], off
	v_add_co_u32 v40, vcc_lo, v44, s4
	v_add_co_ci_u32_e32 v41, vcc_lo, s6, v45, vcc_lo
	ds_read_b128 v[4:7], v252 offset:8320
	global_store_dwordx4 v[34:35], v[8:11], off
	global_store_dwordx4 v[44:45], v[18:21], off
	;; [unrolled: 1-line block ×3, first 2 shown]
	v_add_co_u32 v44, vcc_lo, v40, s5
	ds_read_b128 v[18:21], v252 offset:19136
	s_clause 0x3
	buffer_load_dword v56, off, s[52:55], 0 offset:324
	buffer_load_dword v57, off, s[52:55], 0 offset:328
	;; [unrolled: 1-line block ×4, first 2 shown]
	ds_read_b128 v[22:25], v252 offset:9152
	ds_read_b128 v[30:33], v252 offset:19968
	v_add_co_ci_u32_e32 v45, vcc_lo, s2, v41, vcc_lo
	v_mul_f64 v[34:35], v[38:39], s[0:1]
	ds_read_b128 v[38:41], v252 offset:20800
	s_clause 0x7
	buffer_load_dword v68, off, s[52:55], 0 offset:276
	buffer_load_dword v69, off, s[52:55], 0 offset:280
	buffer_load_dword v70, off, s[52:55], 0 offset:284
	buffer_load_dword v71, off, s[52:55], 0 offset:288
	buffer_load_dword v74, off, s[52:55], 0 offset:356
	buffer_load_dword v75, off, s[52:55], 0 offset:360
	buffer_load_dword v76, off, s[52:55], 0 offset:364
	buffer_load_dword v77, off, s[52:55], 0 offset:368
	v_mul_f64 v[10:11], v[36:37], s[0:1]
	v_mul_f64 v[36:37], v[46:47], s[0:1]
	;; [unrolled: 1-line block ×3, first 2 shown]
	s_waitcnt vmcnt(12) lgkmcnt(6)
	v_mul_f64 v[48:49], v[54:55], v[2:3]
	v_mul_f64 v[50:51], v[54:55], v[0:1]
	s_waitcnt vmcnt(8) lgkmcnt(5)
	v_mul_f64 v[12:13], v[58:59], v[28:29]
	v_mul_f64 v[42:43], v[58:59], v[26:27]
	v_fma_f64 v[0:1], v[52:53], v[0:1], v[48:49]
	v_fma_f64 v[2:3], v[52:53], v[2:3], -v[50:51]
	v_add_co_u32 v50, vcc_lo, v44, s4
	s_waitcnt vmcnt(4) lgkmcnt(4)
	v_mul_f64 v[46:47], v[70:71], v[6:7]
	v_mul_f64 v[48:49], v[70:71], v[4:5]
	s_waitcnt vmcnt(0) lgkmcnt(3)
	v_mul_f64 v[52:53], v[76:77], v[20:21]
	v_mul_f64 v[54:55], v[76:77], v[18:19]
	s_clause 0x7
	buffer_load_dword v70, off, s[52:55], 0 offset:292
	buffer_load_dword v71, off, s[52:55], 0 offset:296
	;; [unrolled: 1-line block ×8, first 2 shown]
	v_add_co_ci_u32_e32 v51, vcc_lo, s6, v45, vcc_lo
	v_fma_f64 v[12:13], v[56:57], v[26:27], v[12:13]
	v_fma_f64 v[26:27], v[56:57], v[28:29], -v[42:43]
	v_mul_f64 v[0:1], v[0:1], s[0:1]
	v_mul_f64 v[2:3], v[2:3], s[0:1]
	v_fma_f64 v[18:19], v[74:75], v[18:19], v[52:53]
	v_fma_f64 v[20:21], v[74:75], v[20:21], -v[54:55]
	s_waitcnt vmcnt(4) lgkmcnt(2)
	v_mul_f64 v[28:29], v[72:73], v[24:25]
	s_waitcnt vmcnt(0) lgkmcnt(1)
	v_mul_f64 v[56:57], v[78:79], v[32:33]
	v_mul_f64 v[58:59], v[78:79], v[30:31]
	s_clause 0x3
	buffer_load_dword v78, off, s[52:55], 0 offset:420
	buffer_load_dword v79, off, s[52:55], 0 offset:424
	;; [unrolled: 1-line block ×4, first 2 shown]
	v_mul_f64 v[42:43], v[72:73], v[22:23]
	v_fma_f64 v[22:23], v[70:71], v[22:23], v[28:29]
	v_fma_f64 v[28:29], v[76:77], v[32:33], -v[58:59]
	v_fma_f64 v[24:25], v[70:71], v[24:25], -v[42:43]
	s_waitcnt vmcnt(0)
	v_mul_f64 v[60:61], v[80:81], v[16:17]
	v_mul_f64 v[62:63], v[80:81], v[14:15]
	s_clause 0x3
	buffer_load_dword v80, off, s[52:55], 0 offset:436
	buffer_load_dword v81, off, s[52:55], 0 offset:440
	;; [unrolled: 1-line block ×4, first 2 shown]
	global_store_dwordx4 v[44:45], v[8:11], off
	global_store_dwordx4 v[50:51], v[34:37], off
	v_fma_f64 v[8:9], v[68:69], v[4:5], v[46:47]
	v_fma_f64 v[10:11], v[68:69], v[6:7], -v[48:49]
	v_mul_f64 v[6:7], v[26:27], s[0:1]
	v_fma_f64 v[26:27], v[76:77], v[30:31], v[56:57]
	v_add_co_u32 v34, vcc_lo, v50, s5
	v_add_co_ci_u32_e32 v35, vcc_lo, s2, v51, vcc_lo
	v_mul_f64 v[4:5], v[12:13], s[0:1]
	v_mul_f64 v[12:13], v[18:19], s[0:1]
	;; [unrolled: 1-line block ×3, first 2 shown]
	global_store_dwordx4 v[34:35], v[0:3], off
	v_fma_f64 v[30:31], v[78:79], v[14:15], v[60:61]
	v_fma_f64 v[32:33], v[78:79], v[16:17], -v[62:63]
	v_mul_f64 v[14:15], v[20:21], s[0:1]
	v_mul_f64 v[16:17], v[22:23], s[0:1]
	;; [unrolled: 1-line block ×8, first 2 shown]
	s_waitcnt vmcnt(0) lgkmcnt(0)
	v_mul_f64 v[64:65], v[82:83], v[40:41]
	v_mul_f64 v[66:67], v[82:83], v[38:39]
	v_fma_f64 v[36:37], v[80:81], v[38:39], v[64:65]
	v_fma_f64 v[38:39], v[80:81], v[40:41], -v[66:67]
	v_add_co_u32 v40, vcc_lo, v34, s4
	v_add_co_ci_u32_e32 v41, vcc_lo, s6, v35, vcc_lo
	v_add_co_u32 v42, vcc_lo, v40, s5
	v_add_co_ci_u32_e32 v43, vcc_lo, s2, v41, vcc_lo
	global_store_dwordx4 v[40:41], v[4:7], off
	v_add_co_u32 v44, vcc_lo, v42, s4
	v_add_co_ci_u32_e32 v45, vcc_lo, s6, v43, vcc_lo
	global_store_dwordx4 v[42:43], v[8:11], off
	v_add_co_u32 v32, vcc_lo, v44, s5
	v_add_co_ci_u32_e32 v33, vcc_lo, s2, v45, vcc_lo
	v_mul_f64 v[28:29], v[36:37], s[0:1]
	v_mul_f64 v[30:31], v[38:39], s[0:1]
	v_add_co_u32 v0, vcc_lo, v32, s4
	v_add_co_ci_u32_e32 v1, vcc_lo, s6, v33, vcc_lo
	v_add_co_u32 v2, vcc_lo, v0, s5
	v_add_co_ci_u32_e32 v3, vcc_lo, s2, v1, vcc_lo
	;; [unrolled: 2-line block ×3, first 2 shown]
	global_store_dwordx4 v[44:45], v[12:15], off
	global_store_dwordx4 v[32:33], v[16:19], off
	;; [unrolled: 1-line block ×5, first 2 shown]
.LBB0_12:
	s_endpgm
	.section	.rodata,"a",@progbits
	.p2align	6, 0x0
	.amdhsa_kernel bluestein_single_fwd_len1352_dim1_dp_op_CI_CI
		.amdhsa_group_segment_fixed_size 21632
		.amdhsa_private_segment_fixed_size 1176
		.amdhsa_kernarg_size 104
		.amdhsa_user_sgpr_count 6
		.amdhsa_user_sgpr_private_segment_buffer 1
		.amdhsa_user_sgpr_dispatch_ptr 0
		.amdhsa_user_sgpr_queue_ptr 0
		.amdhsa_user_sgpr_kernarg_segment_ptr 1
		.amdhsa_user_sgpr_dispatch_id 0
		.amdhsa_user_sgpr_flat_scratch_init 0
		.amdhsa_user_sgpr_private_segment_size 0
		.amdhsa_wavefront_size32 1
		.amdhsa_uses_dynamic_stack 0
		.amdhsa_system_sgpr_private_segment_wavefront_offset 1
		.amdhsa_system_sgpr_workgroup_id_x 1
		.amdhsa_system_sgpr_workgroup_id_y 0
		.amdhsa_system_sgpr_workgroup_id_z 0
		.amdhsa_system_sgpr_workgroup_info 0
		.amdhsa_system_vgpr_workitem_id 0
		.amdhsa_next_free_vgpr 256
		.amdhsa_next_free_sgpr 56
		.amdhsa_reserve_vcc 1
		.amdhsa_reserve_flat_scratch 0
		.amdhsa_float_round_mode_32 0
		.amdhsa_float_round_mode_16_64 0
		.amdhsa_float_denorm_mode_32 3
		.amdhsa_float_denorm_mode_16_64 3
		.amdhsa_dx10_clamp 1
		.amdhsa_ieee_mode 1
		.amdhsa_fp16_overflow 0
		.amdhsa_workgroup_processor_mode 1
		.amdhsa_memory_ordered 1
		.amdhsa_forward_progress 0
		.amdhsa_shared_vgpr_count 0
		.amdhsa_exception_fp_ieee_invalid_op 0
		.amdhsa_exception_fp_denorm_src 0
		.amdhsa_exception_fp_ieee_div_zero 0
		.amdhsa_exception_fp_ieee_overflow 0
		.amdhsa_exception_fp_ieee_underflow 0
		.amdhsa_exception_fp_ieee_inexact 0
		.amdhsa_exception_int_div_zero 0
	.end_amdhsa_kernel
	.text
.Lfunc_end0:
	.size	bluestein_single_fwd_len1352_dim1_dp_op_CI_CI, .Lfunc_end0-bluestein_single_fwd_len1352_dim1_dp_op_CI_CI
                                        ; -- End function
	.section	.AMDGPU.csdata,"",@progbits
; Kernel info:
; codeLenInByte = 50728
; NumSgprs: 58
; NumVgprs: 256
; ScratchSize: 1176
; MemoryBound: 0
; FloatMode: 240
; IeeeMode: 1
; LDSByteSize: 21632 bytes/workgroup (compile time only)
; SGPRBlocks: 7
; VGPRBlocks: 31
; NumSGPRsForWavesPerEU: 58
; NumVGPRsForWavesPerEU: 256
; Occupancy: 3
; WaveLimiterHint : 1
; COMPUTE_PGM_RSRC2:SCRATCH_EN: 1
; COMPUTE_PGM_RSRC2:USER_SGPR: 6
; COMPUTE_PGM_RSRC2:TRAP_HANDLER: 0
; COMPUTE_PGM_RSRC2:TGID_X_EN: 1
; COMPUTE_PGM_RSRC2:TGID_Y_EN: 0
; COMPUTE_PGM_RSRC2:TGID_Z_EN: 0
; COMPUTE_PGM_RSRC2:TIDIG_COMP_CNT: 0
	.text
	.p2alignl 6, 3214868480
	.fill 48, 4, 3214868480
	.type	__hip_cuid_44a879a96f83b56b,@object ; @__hip_cuid_44a879a96f83b56b
	.section	.bss,"aw",@nobits
	.globl	__hip_cuid_44a879a96f83b56b
__hip_cuid_44a879a96f83b56b:
	.byte	0                               ; 0x0
	.size	__hip_cuid_44a879a96f83b56b, 1

	.ident	"AMD clang version 19.0.0git (https://github.com/RadeonOpenCompute/llvm-project roc-6.4.0 25133 c7fe45cf4b819c5991fe208aaa96edf142730f1d)"
	.section	".note.GNU-stack","",@progbits
	.addrsig
	.addrsig_sym __hip_cuid_44a879a96f83b56b
	.amdgpu_metadata
---
amdhsa.kernels:
  - .args:
      - .actual_access:  read_only
        .address_space:  global
        .offset:         0
        .size:           8
        .value_kind:     global_buffer
      - .actual_access:  read_only
        .address_space:  global
        .offset:         8
        .size:           8
        .value_kind:     global_buffer
      - .actual_access:  read_only
        .address_space:  global
        .offset:         16
        .size:           8
        .value_kind:     global_buffer
      - .actual_access:  read_only
        .address_space:  global
        .offset:         24
        .size:           8
        .value_kind:     global_buffer
      - .actual_access:  read_only
        .address_space:  global
        .offset:         32
        .size:           8
        .value_kind:     global_buffer
      - .offset:         40
        .size:           8
        .value_kind:     by_value
      - .address_space:  global
        .offset:         48
        .size:           8
        .value_kind:     global_buffer
      - .address_space:  global
        .offset:         56
        .size:           8
        .value_kind:     global_buffer
      - .address_space:  global
        .offset:         64
        .size:           8
        .value_kind:     global_buffer
      - .address_space:  global
        .offset:         72
        .size:           8
        .value_kind:     global_buffer
      - .offset:         80
        .size:           4
        .value_kind:     by_value
      - .address_space:  global
        .offset:         88
        .size:           8
        .value_kind:     global_buffer
      - .address_space:  global
        .offset:         96
        .size:           8
        .value_kind:     global_buffer
    .group_segment_fixed_size: 21632
    .kernarg_segment_align: 8
    .kernarg_segment_size: 104
    .language:       OpenCL C
    .language_version:
      - 2
      - 0
    .max_flat_workgroup_size: 52
    .name:           bluestein_single_fwd_len1352_dim1_dp_op_CI_CI
    .private_segment_fixed_size: 1176
    .sgpr_count:     58
    .sgpr_spill_count: 0
    .symbol:         bluestein_single_fwd_len1352_dim1_dp_op_CI_CI.kd
    .uniform_work_group_size: 1
    .uses_dynamic_stack: false
    .vgpr_count:     256
    .vgpr_spill_count: 302
    .wavefront_size: 32
    .workgroup_processor_mode: 1
amdhsa.target:   amdgcn-amd-amdhsa--gfx1030
amdhsa.version:
  - 1
  - 2
...

	.end_amdgpu_metadata
